;; amdgpu-corpus repo=ROCm/rocFFT kind=compiled arch=gfx906 opt=O3
	.text
	.amdgcn_target "amdgcn-amd-amdhsa--gfx906"
	.amdhsa_code_object_version 6
	.protected	fft_rtc_fwd_len1105_factors_17_13_5_wgs_255_tpt_85_halfLds_sp_ip_CI_sbrr_dirReg ; -- Begin function fft_rtc_fwd_len1105_factors_17_13_5_wgs_255_tpt_85_halfLds_sp_ip_CI_sbrr_dirReg
	.globl	fft_rtc_fwd_len1105_factors_17_13_5_wgs_255_tpt_85_halfLds_sp_ip_CI_sbrr_dirReg
	.p2align	8
	.type	fft_rtc_fwd_len1105_factors_17_13_5_wgs_255_tpt_85_halfLds_sp_ip_CI_sbrr_dirReg,@function
fft_rtc_fwd_len1105_factors_17_13_5_wgs_255_tpt_85_halfLds_sp_ip_CI_sbrr_dirReg: ; @fft_rtc_fwd_len1105_factors_17_13_5_wgs_255_tpt_85_halfLds_sp_ip_CI_sbrr_dirReg
; %bb.0:
	s_load_dwordx2 s[2:3], s[4:5], 0x18
	s_load_dwordx4 s[8:11], s[4:5], 0x0
	s_load_dwordx2 s[14:15], s[4:5], 0x50
	v_mul_u32_u24_e32 v1, 0x304, v0
	v_lshrrev_b32_e32 v1, 16, v1
	s_waitcnt lgkmcnt(0)
	s_load_dwordx2 s[12:13], s[2:3], 0x0
	v_mad_u64_u32 v[2:3], s[0:1], s6, 3, v[1:2]
	v_mov_b32_e32 v6, 0
	v_cmp_lt_u64_e64 s[0:1], s[10:11], 2
	v_mov_b32_e32 v3, v6
	v_mov_b32_e32 v4, 0
	;; [unrolled: 1-line block ×3, first 2 shown]
	s_and_b64 vcc, exec, s[0:1]
	v_mov_b32_e32 v5, 0
	v_mov_b32_e32 v10, v2
	s_cbranch_vccnz .LBB0_8
; %bb.1:
	s_load_dwordx2 s[0:1], s[4:5], 0x10
	s_add_u32 s6, s2, 8
	s_addc_u32 s7, s3, 0
	v_mov_b32_e32 v4, 0
	v_mov_b32_e32 v9, v3
	s_waitcnt lgkmcnt(0)
	s_add_u32 s18, s0, 8
	s_mov_b64 s[16:17], 1
	v_mov_b32_e32 v5, 0
	s_addc_u32 s19, s1, 0
	v_mov_b32_e32 v8, v2
.LBB0_2:                                ; =>This Inner Loop Header: Depth=1
	s_load_dwordx2 s[20:21], s[18:19], 0x0
                                        ; implicit-def: $vgpr10_vgpr11
	s_waitcnt lgkmcnt(0)
	v_or_b32_e32 v7, s21, v9
	v_cmp_ne_u64_e32 vcc, 0, v[6:7]
	s_and_saveexec_b64 s[0:1], vcc
	s_xor_b64 s[22:23], exec, s[0:1]
	s_cbranch_execz .LBB0_4
; %bb.3:                                ;   in Loop: Header=BB0_2 Depth=1
	v_cvt_f32_u32_e32 v1, s20
	v_cvt_f32_u32_e32 v3, s21
	s_sub_u32 s0, 0, s20
	s_subb_u32 s1, 0, s21
	v_mac_f32_e32 v1, 0x4f800000, v3
	v_rcp_f32_e32 v1, v1
	v_mul_f32_e32 v1, 0x5f7ffffc, v1
	v_mul_f32_e32 v3, 0x2f800000, v1
	v_trunc_f32_e32 v3, v3
	v_mac_f32_e32 v1, 0xcf800000, v3
	v_cvt_u32_f32_e32 v3, v3
	v_cvt_u32_f32_e32 v1, v1
	v_mul_lo_u32 v7, s0, v3
	v_mul_hi_u32 v10, s0, v1
	v_mul_lo_u32 v12, s1, v1
	v_mul_lo_u32 v11, s0, v1
	v_add_u32_e32 v7, v10, v7
	v_add_u32_e32 v7, v7, v12
	v_mul_hi_u32 v10, v1, v11
	v_mul_lo_u32 v12, v1, v7
	v_mul_hi_u32 v14, v1, v7
	v_mul_hi_u32 v13, v3, v11
	v_mul_lo_u32 v11, v3, v11
	v_mul_hi_u32 v15, v3, v7
	v_add_co_u32_e32 v10, vcc, v10, v12
	v_addc_co_u32_e32 v12, vcc, 0, v14, vcc
	v_mul_lo_u32 v7, v3, v7
	v_add_co_u32_e32 v10, vcc, v10, v11
	v_addc_co_u32_e32 v10, vcc, v12, v13, vcc
	v_addc_co_u32_e32 v11, vcc, 0, v15, vcc
	v_add_co_u32_e32 v7, vcc, v10, v7
	v_addc_co_u32_e32 v10, vcc, 0, v11, vcc
	v_add_co_u32_e32 v1, vcc, v1, v7
	v_addc_co_u32_e32 v3, vcc, v3, v10, vcc
	v_mul_lo_u32 v7, s0, v3
	v_mul_hi_u32 v10, s0, v1
	v_mul_lo_u32 v11, s1, v1
	v_mul_lo_u32 v12, s0, v1
	v_add_u32_e32 v7, v10, v7
	v_add_u32_e32 v7, v7, v11
	v_mul_lo_u32 v13, v1, v7
	v_mul_hi_u32 v14, v1, v12
	v_mul_hi_u32 v15, v1, v7
	;; [unrolled: 1-line block ×3, first 2 shown]
	v_mul_lo_u32 v12, v3, v12
	v_mul_hi_u32 v10, v3, v7
	v_add_co_u32_e32 v13, vcc, v14, v13
	v_addc_co_u32_e32 v14, vcc, 0, v15, vcc
	v_mul_lo_u32 v7, v3, v7
	v_add_co_u32_e32 v12, vcc, v13, v12
	v_addc_co_u32_e32 v11, vcc, v14, v11, vcc
	v_addc_co_u32_e32 v10, vcc, 0, v10, vcc
	v_add_co_u32_e32 v7, vcc, v11, v7
	v_addc_co_u32_e32 v10, vcc, 0, v10, vcc
	v_add_co_u32_e32 v1, vcc, v1, v7
	v_addc_co_u32_e32 v3, vcc, v3, v10, vcc
	v_mad_u64_u32 v[10:11], s[0:1], v8, v3, 0
	v_mul_hi_u32 v7, v8, v1
	v_mad_u64_u32 v[12:13], s[0:1], v9, v3, 0
	v_add_co_u32_e32 v7, vcc, v7, v10
	v_addc_co_u32_e32 v14, vcc, 0, v11, vcc
	v_mad_u64_u32 v[10:11], s[0:1], v9, v1, 0
	v_add_co_u32_e32 v1, vcc, v7, v10
	v_addc_co_u32_e32 v1, vcc, v14, v11, vcc
	v_addc_co_u32_e32 v3, vcc, 0, v13, vcc
	v_add_co_u32_e32 v1, vcc, v1, v12
	v_addc_co_u32_e32 v3, vcc, 0, v3, vcc
	v_mul_lo_u32 v7, s21, v1
	v_mul_lo_u32 v12, s20, v3
	v_mad_u64_u32 v[10:11], s[0:1], s20, v1, 0
	v_add3_u32 v7, v11, v12, v7
	v_sub_u32_e32 v11, v9, v7
	v_mov_b32_e32 v12, s21
	v_sub_co_u32_e32 v10, vcc, v8, v10
	v_subb_co_u32_e64 v11, s[0:1], v11, v12, vcc
	v_subrev_co_u32_e64 v12, s[0:1], s20, v10
	v_subbrev_co_u32_e64 v11, s[0:1], 0, v11, s[0:1]
	v_cmp_le_u32_e64 s[0:1], s21, v11
	v_cndmask_b32_e64 v13, 0, -1, s[0:1]
	v_cmp_le_u32_e64 s[0:1], s20, v12
	v_cndmask_b32_e64 v12, 0, -1, s[0:1]
	v_cmp_eq_u32_e64 s[0:1], s21, v11
	v_cndmask_b32_e64 v11, v13, v12, s[0:1]
	v_add_co_u32_e64 v12, s[0:1], 2, v1
	v_addc_co_u32_e64 v13, s[0:1], 0, v3, s[0:1]
	v_add_co_u32_e64 v14, s[0:1], 1, v1
	v_addc_co_u32_e64 v15, s[0:1], 0, v3, s[0:1]
	v_subb_co_u32_e32 v7, vcc, v9, v7, vcc
	v_cmp_ne_u32_e64 s[0:1], 0, v11
	v_cmp_le_u32_e32 vcc, s21, v7
	v_cndmask_b32_e64 v11, v15, v13, s[0:1]
	v_cndmask_b32_e64 v13, 0, -1, vcc
	v_cmp_le_u32_e32 vcc, s20, v10
	v_cndmask_b32_e64 v10, 0, -1, vcc
	v_cmp_eq_u32_e32 vcc, s21, v7
	v_cndmask_b32_e32 v7, v13, v10, vcc
	v_cmp_ne_u32_e32 vcc, 0, v7
	v_cndmask_b32_e32 v11, v3, v11, vcc
	v_cndmask_b32_e64 v3, v14, v12, s[0:1]
	v_cndmask_b32_e32 v10, v1, v3, vcc
.LBB0_4:                                ;   in Loop: Header=BB0_2 Depth=1
	s_andn2_saveexec_b64 s[0:1], s[22:23]
	s_cbranch_execz .LBB0_6
; %bb.5:                                ;   in Loop: Header=BB0_2 Depth=1
	v_cvt_f32_u32_e32 v1, s20
	s_sub_i32 s22, 0, s20
	v_mov_b32_e32 v11, v6
	v_rcp_iflag_f32_e32 v1, v1
	v_mul_f32_e32 v1, 0x4f7ffffe, v1
	v_cvt_u32_f32_e32 v1, v1
	v_mul_lo_u32 v3, s22, v1
	v_mul_hi_u32 v3, v1, v3
	v_add_u32_e32 v1, v1, v3
	v_mul_hi_u32 v1, v8, v1
	v_mul_lo_u32 v3, v1, s20
	v_add_u32_e32 v7, 1, v1
	v_sub_u32_e32 v3, v8, v3
	v_subrev_u32_e32 v10, s20, v3
	v_cmp_le_u32_e32 vcc, s20, v3
	v_cndmask_b32_e32 v3, v3, v10, vcc
	v_cndmask_b32_e32 v1, v1, v7, vcc
	v_add_u32_e32 v7, 1, v1
	v_cmp_le_u32_e32 vcc, s20, v3
	v_cndmask_b32_e32 v10, v1, v7, vcc
.LBB0_6:                                ;   in Loop: Header=BB0_2 Depth=1
	s_or_b64 exec, exec, s[0:1]
	v_mul_lo_u32 v1, v11, s20
	v_mul_lo_u32 v3, v10, s21
	v_mad_u64_u32 v[12:13], s[0:1], v10, s20, 0
	s_load_dwordx2 s[0:1], s[6:7], 0x0
	s_add_u32 s16, s16, 1
	v_add3_u32 v1, v13, v3, v1
	v_sub_co_u32_e32 v3, vcc, v8, v12
	v_subb_co_u32_e32 v1, vcc, v9, v1, vcc
	s_waitcnt lgkmcnt(0)
	v_mul_lo_u32 v1, s0, v1
	v_mul_lo_u32 v7, s1, v3
	v_mad_u64_u32 v[4:5], s[0:1], s0, v3, v[4:5]
	s_addc_u32 s17, s17, 0
	s_add_u32 s6, s6, 8
	v_add3_u32 v5, v7, v5, v1
	v_mov_b32_e32 v7, s10
	v_mov_b32_e32 v8, s11
	s_addc_u32 s7, s7, 0
	v_cmp_ge_u64_e32 vcc, s[16:17], v[7:8]
	s_add_u32 s18, s18, 8
	s_addc_u32 s19, s19, 0
	s_cbranch_vccnz .LBB0_8
; %bb.7:                                ;   in Loop: Header=BB0_2 Depth=1
	v_mov_b32_e32 v8, v10
	v_mov_b32_e32 v9, v11
	s_branch .LBB0_2
.LBB0_8:
	s_lshl_b64 s[0:1], s[10:11], 3
	s_add_u32 s0, s2, s0
	s_addc_u32 s1, s3, s1
	s_load_dwordx2 s[2:3], s[0:1], 0x0
	s_load_dwordx2 s[6:7], s[4:5], 0x20
	v_mov_b32_e32 v7, 0
                                        ; implicit-def: $vgpr9
                                        ; implicit-def: $vgpr13
                                        ; implicit-def: $vgpr15
                                        ; implicit-def: $vgpr17
                                        ; implicit-def: $vgpr19
                                        ; implicit-def: $vgpr21
                                        ; implicit-def: $vgpr23
                                        ; implicit-def: $vgpr39
                                        ; implicit-def: $vgpr37
                                        ; implicit-def: $vgpr25
                                        ; implicit-def: $vgpr27
                                        ; implicit-def: $vgpr29
                                        ; implicit-def: $vgpr31
                                        ; implicit-def: $vgpr33
                                        ; implicit-def: $vgpr35
	s_waitcnt lgkmcnt(0)
	v_mad_u64_u32 v[3:4], s[0:1], s2, v10, v[4:5]
	s_mov_b32 s0, 0x3030304
	v_mul_lo_u32 v1, s2, v11
	v_mul_lo_u32 v6, s3, v10
	v_mul_hi_u32 v5, v0, s0
	v_cmp_gt_u64_e32 vcc, s[6:7], v[10:11]
	s_movk_i32 s0, 0x41
	v_add3_u32 v4, v6, v4, v1
	v_mul_u32_u24_e32 v1, 0x55, v5
	v_sub_u32_e32 v52, v0, v1
	v_cmp_gt_u32_e64 s[0:1], s0, v52
	v_lshlrev_b64 v[0:1], 3, v[3:4]
	s_and_b64 s[2:3], vcc, s[0:1]
	v_mov_b32_e32 v6, 0
                                        ; implicit-def: $vgpr11
	s_and_saveexec_b64 s[4:5], s[2:3]
	s_cbranch_execz .LBB0_10
; %bb.9:
	v_mad_u64_u32 v[3:4], s[2:3], s12, v52, 0
	v_add_u32_e32 v8, 0x41, v52
	v_mov_b32_e32 v7, s15
	v_mad_u64_u32 v[4:5], s[2:3], s13, v52, v[4:5]
	v_mad_u64_u32 v[5:6], s[2:3], s12, v8, 0
	v_add_co_u32_e64 v13, s[2:3], s14, v0
	v_addc_co_u32_e64 v14, s[2:3], v7, v1, s[2:3]
	v_mad_u64_u32 v[6:7], s[2:3], s13, v8, v[6:7]
	v_add_u32_e32 v9, 0x82, v52
	v_mad_u64_u32 v[7:8], s[2:3], s12, v9, 0
	v_lshlrev_b64 v[3:4], 3, v[3:4]
	v_add_u32_e32 v11, 0xc3, v52
	v_add_co_u32_e64 v3, s[2:3], v13, v3
	v_addc_co_u32_e64 v4, s[2:3], v14, v4, s[2:3]
	v_mad_u64_u32 v[8:9], s[2:3], s13, v9, v[8:9]
	v_mad_u64_u32 v[9:10], s[2:3], s12, v11, 0
	v_lshlrev_b64 v[5:6], 3, v[5:6]
	v_add_co_u32_e64 v36, s[2:3], v13, v5
	v_addc_co_u32_e64 v37, s[2:3], v14, v6, s[2:3]
	v_lshlrev_b64 v[5:6], 3, v[7:8]
	v_mov_b32_e32 v7, v10
	v_mad_u64_u32 v[7:8], s[2:3], s13, v11, v[7:8]
	v_add_u32_e32 v8, 0x104, v52
	v_mad_u64_u32 v[11:12], s[2:3], s12, v8, 0
	v_add_co_u32_e64 v38, s[2:3], v13, v5
	v_mov_b32_e32 v10, v7
	v_mov_b32_e32 v7, v12
	v_addc_co_u32_e64 v39, s[2:3], v14, v6, s[2:3]
	v_lshlrev_b64 v[5:6], 3, v[9:10]
	v_mad_u64_u32 v[7:8], s[2:3], s13, v8, v[7:8]
	v_add_u32_e32 v10, 0x145, v52
	v_mad_u64_u32 v[8:9], s[2:3], s12, v10, 0
	v_add_co_u32_e64 v40, s[2:3], v13, v5
	v_mov_b32_e32 v12, v7
	v_mov_b32_e32 v7, v9
	v_addc_co_u32_e64 v41, s[2:3], v14, v6, s[2:3]
	v_lshlrev_b64 v[5:6], 3, v[11:12]
	v_mad_u64_u32 v[9:10], s[2:3], s13, v10, v[7:8]
	v_add_u32_e32 v12, 0x186, v52
	v_mad_u64_u32 v[10:11], s[2:3], s12, v12, 0
	v_add_co_u32_e64 v42, s[2:3], v13, v5
	v_mov_b32_e32 v7, v11
	v_addc_co_u32_e64 v43, s[2:3], v14, v6, s[2:3]
	v_lshlrev_b64 v[5:6], 3, v[8:9]
	v_mad_u64_u32 v[7:8], s[2:3], s13, v12, v[7:8]
	v_add_u32_e32 v12, 0x1c7, v52
	v_mad_u64_u32 v[8:9], s[2:3], s12, v12, 0
	v_add_co_u32_e64 v44, s[2:3], v13, v5
	v_mov_b32_e32 v11, v7
	v_mov_b32_e32 v7, v9
	v_addc_co_u32_e64 v45, s[2:3], v14, v6, s[2:3]
	v_lshlrev_b64 v[5:6], 3, v[10:11]
	v_mad_u64_u32 v[9:10], s[2:3], s13, v12, v[7:8]
	v_add_u32_e32 v12, 0x208, v52
	v_mad_u64_u32 v[10:11], s[2:3], s12, v12, 0
	v_add_co_u32_e64 v46, s[2:3], v13, v5
	;; [unrolled: 15-line block ×6, first 2 shown]
	v_mov_b32_e32 v7, v11
	v_addc_co_u32_e64 v64, s[2:3], v14, v6, s[2:3]
	v_lshlrev_b64 v[5:6], 3, v[8:9]
	v_mad_u64_u32 v[7:8], s[2:3], s13, v12, v[7:8]
	v_add_co_u32_e64 v65, s[2:3], v13, v5
	v_mov_b32_e32 v11, v7
	v_addc_co_u32_e64 v66, s[2:3], v14, v6, s[2:3]
	v_lshlrev_b64 v[5:6], 3, v[10:11]
	v_add_co_u32_e64 v67, s[2:3], v13, v5
	v_addc_co_u32_e64 v68, s[2:3], v14, v6, s[2:3]
	global_load_dwordx2 v[6:7], v[3:4], off
	global_load_dwordx2 v[8:9], v[36:37], off
	;; [unrolled: 1-line block ×15, first 2 shown]
                                        ; kill: killed $vgpr55 killed $vgpr56
                                        ; kill: killed $vgpr44 killed $vgpr45
                                        ; kill: killed $vgpr3 killed $vgpr4
                                        ; kill: killed $vgpr59 killed $vgpr60
                                        ; kill: killed $vgpr48 killed $vgpr49
                                        ; kill: killed $vgpr38 killed $vgpr39
                                        ; kill: killed $vgpr63 killed $vgpr64
                                        ; kill: killed $vgpr53 killed $vgpr54
                                        ; kill: killed $vgpr42 killed $vgpr43
                                        ; kill: killed $vgpr57 killed $vgpr58
                                        ; kill: killed $vgpr46 killed $vgpr47
                                        ; kill: killed $vgpr36 killed $vgpr37
                                        ; kill: killed $vgpr61 killed $vgpr62
                                        ; kill: killed $vgpr50 killed $vgpr51
                                        ; kill: killed $vgpr40 killed $vgpr41
	global_load_dwordx2 v[36:37], v[65:66], off
	global_load_dwordx2 v[38:39], v[67:68], off
.LBB0_10:
	s_or_b64 exec, exec, s[4:5]
	s_mov_b32 s2, 0xaaaaaaab
	v_mul_hi_u32 v3, v2, s2
	s_waitcnt vmcnt(0)
	v_add_f32_e32 v5, v8, v38
	v_mul_f32_e32 v56, 0x3ee437d1, v5
	v_sub_f32_e32 v41, v9, v39
	v_lshrrev_b32_e32 v3, 1, v3
	v_lshl_add_u32 v3, v3, 1, v3
	v_sub_u32_e32 v3, v2, v3
	v_mov_b32_e32 v2, v56
	v_fmac_f32_e32 v2, 0xbf65296c, v41
	v_add_f32_e32 v4, v6, v2
	v_add_f32_e32 v2, v10, v36
	v_mul_f32_e32 v57, 0xbf1a4643, v2
	v_sub_f32_e32 v43, v11, v37
	v_mov_b32_e32 v40, v57
	v_mul_f32_e32 v61, 0x3dbcf732, v5
	v_fmac_f32_e32 v40, 0xbf4c4adb, v43
	v_add_f32_e32 v4, v4, v40
	v_mov_b32_e32 v40, v61
	v_mul_f32_e32 v63, 0xbf7ba420, v2
	v_fmac_f32_e32 v40, 0xbf7ee86f, v41
	v_mov_b32_e32 v42, v63
	v_add_f32_e32 v40, v6, v40
	v_fmac_f32_e32 v42, 0xbe3c28d5, v43
	v_add_f32_e32 v42, v40, v42
	v_add_f32_e32 v40, v12, v24
	v_mul_f32_e32 v58, 0xbf7ba420, v40
	v_sub_f32_e32 v46, v13, v25
	v_mov_b32_e32 v44, v58
	v_fmac_f32_e32 v44, 0x3e3c28d5, v46
	v_mul_f32_e32 v65, 0xbe8c1d8e, v40
	v_add_f32_e32 v4, v4, v44
	v_mov_b32_e32 v44, v65
	v_fmac_f32_e32 v44, 0x3f763a35, v46
	v_add_f32_e32 v44, v42, v44
	v_add_f32_e32 v42, v14, v26
	v_mul_f32_e32 v59, 0xbe8c1d8e, v42
	v_sub_f32_e32 v47, v15, v27
	v_mov_b32_e32 v45, v59
	v_fmac_f32_e32 v45, 0x3f763a35, v47
	v_mul_f32_e32 v67, 0x3f6eb680, v42
	v_add_f32_e32 v4, v4, v45
	v_mov_b32_e32 v45, v67
	;; [unrolled: 10-line block ×5, first 2 shown]
	v_fmac_f32_e32 v53, 0x3f4c4adb, v54
	v_add_f32_e32 v72, v50, v53
	v_add_f32_e32 v50, v22, v34
	v_mul_f32_e32 v66, 0xbf59a7d5, v50
	v_sub_f32_e32 v55, v23, v35
	v_mov_b32_e32 v53, v66
	v_fmac_f32_e32 v53, 0xbf06c442, v55
	v_mul_f32_e32 v71, 0x3f3d2fb0, v50
	v_add_f32_e32 v53, v4, v53
	v_mul_u32_u24_e32 v4, 0x451, v3
	v_mov_b32_e32 v3, v71
	v_fmac_f32_e32 v3, 0x3f2c7751, v55
	s_mov_b32 s10, 0x3ee437d1
	s_mov_b32 s7, 0x3dbcf732
	;; [unrolled: 1-line block ×8, first 2 shown]
	v_add_f32_e32 v3, v72, v3
	v_lshlrev_b32_e32 v4, 2, v4
	s_and_saveexec_b64 s[2:3], s[0:1]
	s_cbranch_execz .LBB0_12
; %bb.11:
	v_mul_f32_e32 v72, 0xbe3c28d5, v41
	v_mov_b32_e32 v73, v72
	v_mul_f32_e32 v74, 0x3eb8f4ab, v43
	v_fmac_f32_e32 v73, 0xbf7ba420, v5
	v_mov_b32_e32 v75, v74
	v_add_f32_e32 v73, v6, v73
	v_fmac_f32_e32 v75, 0x3f6eb680, v2
	v_add_f32_e32 v73, v73, v75
	v_mul_f32_e32 v75, 0xbf06c442, v46
	v_mov_b32_e32 v76, v75
	v_fmac_f32_e32 v76, 0xbf59a7d5, v40
	v_add_f32_e32 v73, v73, v76
	v_mul_f32_e32 v76, 0x3f2c7751, v47
	v_mov_b32_e32 v77, v76
	;; [unrolled: 4-line block ×3, first 2 shown]
	v_fmac_f32_e32 v78, 0xbf1a4643, v44
	v_add_f32_e32 v73, v73, v78
	v_mul_f32_e32 v78, 0x3f65296c, v51
	v_fma_f32 v72, v5, s17, -v72
	v_mov_b32_e32 v79, v78
	v_add_f32_e32 v72, v6, v72
	v_fma_f32 v74, v2, s11, -v74
	v_fmac_f32_e32 v79, 0x3ee437d1, v45
	v_add_f32_e32 v72, v72, v74
	v_fma_f32 v74, v40, s6, -v75
	v_add_f32_e32 v73, v73, v79
	v_mul_f32_e32 v79, 0xbf763a35, v54
	v_add_f32_e32 v72, v72, v74
	v_fma_f32 v74, v42, s4, -v76
	v_mov_b32_e32 v80, v79
	v_add_f32_e32 v72, v72, v74
	v_fma_f32 v74, v44, s5, -v77
	v_fmac_f32_e32 v80, 0xbe8c1d8e, v48
	v_add_f32_e32 v72, v72, v74
	v_fma_f32 v74, v45, s10, -v78
	v_add_f32_e32 v73, v73, v80
	v_mul_f32_e32 v80, 0x3f7ee86f, v55
	v_add_f32_e32 v72, v72, v74
	v_fma_f32 v74, v48, s16, -v79
	v_add_f32_e32 v72, v72, v74
	v_fma_f32 v74, v50, s7, -v80
	v_add_f32_e32 v72, v72, v74
	v_mul_f32_e32 v74, 0xbf06c442, v41
	v_mov_b32_e32 v75, v74
	v_mul_f32_e32 v76, 0x3f65296c, v43
	v_fmac_f32_e32 v75, 0xbf59a7d5, v5
	v_mov_b32_e32 v77, v76
	v_add_f32_e32 v75, v6, v75
	v_fmac_f32_e32 v77, 0x3ee437d1, v2
	v_add_f32_e32 v75, v75, v77
	v_mul_f32_e32 v77, 0xbf7ee86f, v46
	v_mov_b32_e32 v78, v77
	v_fmac_f32_e32 v78, 0x3dbcf732, v40
	v_add_f32_e32 v75, v75, v78
	v_mul_f32_e32 v78, 0x3f4c4adb, v47
	v_mov_b32_e32 v79, v78
	v_fmac_f32_e32 v79, 0xbf1a4643, v42
	v_add_f32_e32 v75, v75, v79
	v_mul_f32_e32 v79, 0xbeb8f4ab, v49
	v_mov_b32_e32 v81, v80
	v_mov_b32_e32 v80, v79
	v_fmac_f32_e32 v80, 0x3f6eb680, v44
	v_fmac_f32_e32 v81, 0x3dbcf732, v50
	v_add_f32_e32 v75, v75, v80
	v_mul_f32_e32 v80, 0xbe3c28d5, v51
	v_fma_f32 v74, v5, s6, -v74
	v_add_f32_e32 v73, v73, v81
	v_mov_b32_e32 v81, v80
	v_add_f32_e32 v74, v6, v74
	v_fma_f32 v76, v2, s10, -v76
	v_fmac_f32_e32 v81, 0xbf7ba420, v45
	v_add_f32_e32 v74, v74, v76
	v_fma_f32 v76, v40, s7, -v77
	v_add_f32_e32 v75, v75, v81
	v_mul_f32_e32 v81, 0x3f2c7751, v54
	v_add_f32_e32 v74, v74, v76
	v_fma_f32 v76, v42, s5, -v78
	v_mov_b32_e32 v82, v81
	v_add_f32_e32 v74, v74, v76
	v_fma_f32 v76, v44, s11, -v79
	v_fmac_f32_e32 v82, 0x3f3d2fb0, v48
	v_add_f32_e32 v74, v74, v76
	v_fma_f32 v76, v45, s17, -v80
	v_add_f32_e32 v75, v75, v82
	v_mul_f32_e32 v82, 0xbf763a35, v55
	v_add_f32_e32 v74, v74, v76
	v_fma_f32 v76, v48, s4, -v81
	v_add_f32_e32 v74, v74, v76
	v_fma_f32 v76, v50, s16, -v82
	v_add_f32_e32 v74, v74, v76
	v_mul_f32_e32 v76, 0xbf4c4adb, v41
	v_mov_b32_e32 v77, v76
	v_mul_f32_e32 v78, 0x3f763a35, v43
	v_fmac_f32_e32 v77, 0xbf1a4643, v5
	v_mov_b32_e32 v79, v78
	v_add_f32_e32 v77, v6, v77
	v_fmac_f32_e32 v79, 0xbe8c1d8e, v2
	v_add_f32_e32 v77, v77, v79
	v_mul_f32_e32 v79, 0xbeb8f4ab, v46
	v_mov_b32_e32 v80, v79
	v_fmac_f32_e32 v80, 0x3f6eb680, v40
	v_add_f32_e32 v77, v77, v80
	v_mul_f32_e32 v80, 0xbf06c442, v47
	v_mov_b32_e32 v81, v80
	v_fmac_f32_e32 v81, 0xbf59a7d5, v42
	v_add_f32_e32 v77, v77, v81
	v_mul_f32_e32 v81, 0x3f7ee86f, v49
	v_mov_b32_e32 v83, v82
	v_mov_b32_e32 v82, v81
	v_fmac_f32_e32 v82, 0x3dbcf732, v44
	v_fmac_f32_e32 v83, 0xbe8c1d8e, v50
	v_add_f32_e32 v77, v77, v82
	v_mul_f32_e32 v82, 0xbf2c7751, v51
	v_fma_f32 v76, v5, s5, -v76
	v_add_f32_e32 v75, v75, v83
	;; [unrolled: 48-line block ×3, first 2 shown]
	v_mov_b32_e32 v85, v84
	v_add_f32_e32 v78, v6, v78
	v_fma_f32 v80, v2, s6, -v80
	v_fmac_f32_e32 v85, 0x3dbcf732, v45
	v_add_f32_e32 v78, v78, v80
	v_fma_f32 v80, v40, s4, -v81
	v_add_f32_e32 v79, v79, v85
	v_mul_f32_e32 v85, 0xbeb8f4ab, v54
	v_add_f32_e32 v78, v78, v80
	v_fma_f32 v80, v42, s10, -v82
	v_mov_b32_e32 v86, v85
	v_add_f32_e32 v78, v78, v80
	v_fma_f32 v80, v44, s17, -v83
	v_fmac_f32_e32 v86, 0x3f6eb680, v48
	v_add_f32_e32 v78, v78, v80
	v_fma_f32 v80, v45, s7, -v84
	v_add_f32_e32 v79, v79, v86
	v_mul_f32_e32 v86, 0xbf4c4adb, v55
	v_add_f32_e32 v78, v78, v80
	v_fma_f32 v80, v48, s11, -v85
	v_add_f32_e32 v78, v78, v80
	v_fma_f32 v80, v50, s5, -v86
	v_add_f32_e32 v78, v78, v80
	v_mul_f32_e32 v80, 0xbf7ee86f, v41
	v_sub_f32_e32 v61, v61, v80
	v_mul_f32_e32 v80, 0xbe3c28d5, v43
	v_sub_f32_e32 v63, v63, v80
	v_add_f32_e32 v61, v6, v61
	v_add_f32_e32 v61, v61, v63
	v_mul_f32_e32 v63, 0x3f763a35, v46
	v_sub_f32_e32 v63, v65, v63
	v_add_f32_e32 v61, v61, v63
	v_mul_f32_e32 v63, 0x3eb8f4ab, v47
	v_sub_f32_e32 v63, v67, v63
	;; [unrolled: 3-line block ×7, first 2 shown]
	v_mul_f32_e32 v63, 0xbf4c4adb, v43
	v_sub_f32_e32 v57, v57, v63
	v_mul_f32_e32 v63, 0x3e3c28d5, v46
	v_add_f32_e32 v56, v6, v56
	v_add_f32_e32 v56, v56, v57
	v_mul_f32_e32 v57, 0x3f763a35, v47
	v_sub_f32_e32 v58, v58, v63
	v_mul_f32_e32 v63, 0x3f2c7751, v49
	v_add_f32_e32 v56, v56, v58
	v_sub_f32_e32 v57, v59, v57
	v_mul_f32_e32 v58, 0xbeb8f4ab, v51
	v_add_f32_e32 v56, v56, v57
	v_sub_f32_e32 v60, v60, v63
	v_mul_f32_e32 v59, 0xbf7ee86f, v54
	v_add_f32_e32 v56, v56, v60
	v_sub_f32_e32 v58, v62, v58
	v_mul_f32_e32 v57, 0xbf06c442, v55
	v_add_f32_e32 v56, v56, v58
	v_sub_f32_e32 v58, v64, v59
	v_add_f32_e32 v56, v56, v58
	v_sub_f32_e32 v57, v66, v57
	v_add_f32_e32 v56, v56, v57
	v_mul_f32_e32 v57, 0xbf2c7751, v41
	v_mov_b32_e32 v58, v57
	v_mul_f32_e32 v59, 0xbf7ee86f, v43
	v_fmac_f32_e32 v58, 0x3f3d2fb0, v5
	v_mov_b32_e32 v60, v59
	v_add_f32_e32 v58, v6, v58
	v_fmac_f32_e32 v60, 0x3dbcf732, v2
	v_add_f32_e32 v58, v58, v60
	v_mul_f32_e32 v60, 0xbf4c4adb, v46
	v_mov_b32_e32 v62, v60
	v_fmac_f32_e32 v62, 0xbf1a4643, v40
	v_add_f32_e32 v58, v58, v62
	v_mul_f32_e32 v62, 0xbe3c28d5, v47
	v_mov_b32_e32 v63, v62
	;; [unrolled: 4-line block ×3, first 2 shown]
	v_fmac_f32_e32 v64, 0xbf59a7d5, v44
	v_add_f32_e32 v58, v58, v64
	v_mul_f32_e32 v64, 0x3f763a35, v51
	v_fma_f32 v57, v5, s4, -v57
	v_mov_b32_e32 v65, v64
	v_add_f32_e32 v57, v6, v57
	v_fma_f32 v59, v2, s7, -v59
	v_fmac_f32_e32 v65, 0xbe8c1d8e, v45
	v_add_f32_e32 v57, v57, v59
	v_fma_f32 v59, v40, s5, -v60
	v_add_f32_e32 v58, v58, v65
	v_mul_f32_e32 v65, 0x3f65296c, v54
	v_add_f32_e32 v57, v57, v59
	v_fma_f32 v59, v42, s17, -v62
	v_mov_b32_e32 v66, v65
	v_add_f32_e32 v57, v57, v59
	v_fma_f32 v59, v44, s6, -v63
	v_fmac_f32_e32 v66, 0x3ee437d1, v48
	v_add_f32_e32 v57, v57, v59
	v_fma_f32 v59, v45, s16, -v64
	v_add_f32_e32 v58, v58, v66
	v_mul_f32_e32 v66, 0x3eb8f4ab, v55
	v_add_f32_e32 v57, v57, v59
	v_fma_f32 v59, v48, s10, -v65
	v_add_f32_e32 v57, v57, v59
	v_fma_f32 v59, v50, s11, -v66
	v_mul_f32_e32 v41, 0xbeb8f4ab, v41
	v_add_f32_e32 v57, v57, v59
	v_mov_b32_e32 v59, v41
	v_mul_f32_e32 v43, 0xbf2c7751, v43
	v_fmac_f32_e32 v59, 0x3f6eb680, v5
	v_mov_b32_e32 v60, v43
	v_fma_f32 v5, v5, s11, -v41
	v_fmac_f32_e32 v60, 0x3f3d2fb0, v2
	v_mul_f32_e32 v46, 0xbf65296c, v46
	v_add_f32_e32 v5, v6, v5
	v_fma_f32 v2, v2, s4, -v43
	v_mul_f32_e32 v47, 0xbf7ee86f, v47
	v_add_f32_e32 v2, v5, v2
	v_fma_f32 v5, v40, s10, -v46
	;; [unrolled: 3-line block ×6, first 2 shown]
	v_add_f32_e32 v2, v2, v5
	v_fma_f32 v5, v50, s17, -v55
	v_add_f32_e32 v2, v2, v5
	v_add_f32_e32 v5, v6, v8
	;; [unrolled: 1-line block ×7, first 2 shown]
	v_mov_b32_e32 v60, v46
	v_add_f32_e32 v5, v5, v16
	v_fmac_f32_e32 v60, 0x3ee437d1, v40
	v_add_f32_e32 v5, v5, v18
	v_add_f32_e32 v59, v59, v60
	v_mov_b32_e32 v60, v47
	v_add_f32_e32 v5, v5, v20
	v_fmac_f32_e32 v60, 0x3dbcf732, v42
	v_add_f32_e32 v5, v5, v22
	v_add_f32_e32 v59, v59, v60
	;; [unrolled: 5-line block ×4, first 2 shown]
	v_mov_b32_e32 v60, v54
	v_add_f32_e32 v5, v26, v5
	v_fmac_f32_e32 v60, 0xbf59a7d5, v48
	v_add_f32_e32 v5, v24, v5
	v_mov_b32_e32 v87, v86
	v_mov_b32_e32 v67, v66
	v_add_f32_e32 v59, v59, v60
	v_mov_b32_e32 v60, v55
	v_add_f32_e32 v5, v36, v5
	v_mul_u32_u24_e32 v6, 0x44, v52
	v_fmac_f32_e32 v87, 0xbf1a4643, v50
	v_fmac_f32_e32 v67, 0x3f6eb680, v50
	;; [unrolled: 1-line block ×3, first 2 shown]
	v_add_f32_e32 v5, v38, v5
	v_add3_u32 v6, 0, v6, v4
	v_add_f32_e32 v79, v79, v87
	v_add_f32_e32 v58, v58, v67
	;; [unrolled: 1-line block ×3, first 2 shown]
	ds_write2_b32 v6, v5, v2 offset1:1
	ds_write2_b32 v6, v57, v56 offset0:2 offset1:3
	ds_write2_b32 v6, v61, v78 offset0:4 offset1:5
	;; [unrolled: 1-line block ×7, first 2 shown]
	ds_write_b32 v6, v59 offset:64
.LBB0_12:
	s_or_b64 exec, exec, s[2:3]
	v_sub_f32_e32 v77, v8, v38
	v_add_f32_e32 v76, v9, v39
	v_mul_f32_e32 v78, 0xbf65296c, v77
	v_sub_f32_e32 v73, v10, v36
	v_fma_f32 v2, v76, s10, -v78
	v_mul_f32_e32 v79, 0xbf7ee86f, v77
	v_add_f32_e32 v72, v11, v37
	v_mul_f32_e32 v74, 0xbf4c4adb, v73
	v_add_f32_e32 v2, v7, v2
	v_fma_f32 v5, v76, s7, -v79
	v_fma_f32 v6, v72, s5, -v74
	v_mul_f32_e32 v75, 0xbe3c28d5, v73
	v_sub_f32_e32 v69, v12, v24
	v_add_f32_e32 v5, v7, v5
	v_add_f32_e32 v2, v2, v6
	v_fma_f32 v6, v72, s17, -v75
	v_add_f32_e32 v68, v13, v25
	v_mul_f32_e32 v70, 0x3e3c28d5, v69
	v_add_f32_e32 v5, v5, v6
	v_fma_f32 v6, v68, s17, -v70
	v_mul_f32_e32 v71, 0x3f763a35, v69
	v_sub_f32_e32 v65, v14, v26
	v_add_f32_e32 v2, v2, v6
	v_fma_f32 v6, v68, s16, -v71
	v_add_f32_e32 v64, v15, v27
	v_mul_f32_e32 v66, 0x3f763a35, v65
	v_add_f32_e32 v5, v5, v6
	v_fma_f32 v6, v64, s16, -v66
	v_mul_f32_e32 v67, 0x3eb8f4ab, v65
	v_sub_f32_e32 v61, v16, v28
	;; [unrolled: 8-line block ×5, first 2 shown]
	v_add_f32_e32 v2, v2, v6
	v_fma_f32 v6, v36, s5, -v55
	v_add_f32_e32 v16, v23, v35
	v_mul_f32_e32 v26, 0xbf06c442, v18
	v_add_f32_e32 v5, v5, v6
	v_fma_f32 v6, v16, s6, -v26
	v_add_f32_e32 v30, v2, v6
	v_lshlrev_b32_e32 v6, 2, v52
	v_add_u32_e32 v24, 0, v6
	v_add_u32_e32 v20, v24, v4
	v_add3_u32 v32, 0, v4, v6
	v_add_u32_e32 v8, 0x200, v20
	v_add_u32_e32 v10, 0x400, v20
	;; [unrolled: 1-line block ×5, first 2 shown]
	s_waitcnt lgkmcnt(0)
	s_barrier
	ds_read_b32 v2, v32
	ds_read2_b32 v[50:51], v20 offset0:85 offset1:170
	ds_read2_b32 v[48:49], v8 offset0:127 offset1:212
	;; [unrolled: 1-line block ×6, first 2 shown]
	v_mul_f32_e32 v28, 0x3f2c7751, v18
	v_fma_f32 v34, v16, s4, -v28
	v_add_f32_e32 v5, v5, v34
	s_waitcnt lgkmcnt(0)
	s_barrier
	s_and_saveexec_b64 s[2:3], s[0:1]
	s_cbranch_execz .LBB0_14
; %bb.13:
	v_add_f32_e32 v9, v7, v9
	v_add_f32_e32 v9, v9, v11
	;; [unrolled: 1-line block ×10, first 2 shown]
	v_mul_f32_e32 v34, 0x3ee437d1, v76
	v_add_f32_e32 v9, v31, v9
	v_add_f32_e32 v9, v29, v9
	;; [unrolled: 1-line block ×3, first 2 shown]
	v_mul_f32_e32 v34, 0xbe3c28d5, v77
	v_mul_f32_e32 v80, 0x3dbcf732, v76
	v_add_f32_e32 v9, v27, v9
	v_mul_f32_e32 v11, 0xbeb8f4ab, v77
	s_mov_b32 s1, 0x3f6eb680
	v_mul_f32_e32 v15, 0xbf2c7751, v77
	s_mov_b32 s6, 0x3f3d2fb0
	;; [unrolled: 2-line block ×5, first 2 shown]
	s_mov_b32 s7, 0xbf7ba420
	v_mov_b32_e32 v35, v34
	v_add_f32_e32 v9, v25, v9
	v_fma_f32 v13, v76, s1, -v11
	v_fmac_f32_e32 v11, 0x3f6eb680, v76
	v_fma_f32 v17, v76, s6, -v15
	v_fmac_f32_e32 v15, 0x3f3d2fb0, v76
	v_add_f32_e32 v21, v80, v79
	v_fma_f32 v25, v76, s0, -v23
	v_fmac_f32_e32 v23, 0xbe8c1d8e, v76
	v_fma_f32 v29, v76, s4, -v27
	v_fmac_f32_e32 v27, 0xbf1a4643, v76
	;; [unrolled: 2-line block ×3, first 2 shown]
	v_fmac_f32_e32 v35, 0xbf7ba420, v76
	v_fma_f32 v34, v76, s7, -v34
	v_add_f32_e32 v11, v7, v11
	v_add_f32_e32 v13, v7, v13
	;; [unrolled: 1-line block ×14, first 2 shown]
	v_mul_f32_e32 v34, 0xbf2c7751, v73
	v_add_f32_e32 v9, v37, v9
	v_fma_f32 v37, v72, s6, -v34
	v_fmac_f32_e32 v34, 0x3f3d2fb0, v72
	v_add_f32_e32 v11, v11, v34
	v_mul_f32_e32 v34, 0xbf7ee86f, v73
	s_mov_b32 s5, 0x3dbcf732
	v_mul_f32_e32 v81, 0xbf1a4643, v72
	v_add_f32_e32 v13, v13, v37
	v_fma_f32 v37, v72, s5, -v34
	v_fmac_f32_e32 v34, 0x3dbcf732, v72
	v_mul_f32_e32 v82, 0xbf7ba420, v72
	v_add_f32_e32 v15, v15, v34
	v_add_f32_e32 v34, v81, v74
	v_add_f32_e32 v19, v19, v34
	v_add_f32_e32 v34, v82, v75
	v_add_f32_e32 v21, v21, v34
	v_mul_f32_e32 v34, 0x3f06c442, v73
	v_add_f32_e32 v17, v17, v37
	v_fma_f32 v37, v72, s11, -v34
	v_fmac_f32_e32 v34, 0xbf59a7d5, v72
	v_add_f32_e32 v23, v23, v34
	v_mul_f32_e32 v34, 0x3f763a35, v73
	v_add_f32_e32 v25, v25, v37
	v_fma_f32 v37, v72, s0, -v34
	v_fmac_f32_e32 v34, 0xbe8c1d8e, v72
	v_add_f32_e32 v27, v27, v34
	v_mul_f32_e32 v34, 0x3f65296c, v73
	v_add_f32_e32 v29, v29, v37
	v_fma_f32 v37, v72, s10, -v34
	v_fmac_f32_e32 v34, 0x3ee437d1, v72
	v_add_f32_e32 v31, v31, v34
	v_mul_f32_e32 v34, 0x3eb8f4ab, v73
	v_add_f32_e32 v33, v33, v37
	v_mov_b32_e32 v37, v34
	v_fma_f32 v34, v72, s1, -v34
	v_fmac_f32_e32 v37, 0x3f6eb680, v72
	v_add_f32_e32 v7, v7, v34
	v_mul_f32_e32 v34, 0xbf65296c, v69
	v_add_f32_e32 v35, v35, v37
	v_fma_f32 v37, v68, s10, -v34
	v_fmac_f32_e32 v34, 0x3ee437d1, v68
	v_add_f32_e32 v11, v11, v34
	v_mul_f32_e32 v34, 0xbf4c4adb, v69
	v_mul_f32_e32 v83, 0xbf7ba420, v68
	v_add_f32_e32 v13, v13, v37
	v_fma_f32 v37, v68, s4, -v34
	v_fmac_f32_e32 v34, 0xbf1a4643, v68
	v_mul_f32_e32 v84, 0xbe8c1d8e, v68
	v_add_f32_e32 v15, v15, v34
	v_add_f32_e32 v34, v83, v70
	v_add_f32_e32 v19, v19, v34
	v_add_f32_e32 v34, v84, v71
	v_add_f32_e32 v21, v21, v34
	v_mul_f32_e32 v34, 0x3f2c7751, v69
	v_add_f32_e32 v17, v17, v37
	v_fma_f32 v37, v68, s6, -v34
	v_fmac_f32_e32 v34, 0x3f3d2fb0, v68
	v_add_f32_e32 v23, v23, v34
	v_mul_f32_e32 v34, 0xbeb8f4ab, v69
	v_add_f32_e32 v25, v25, v37
	v_fma_f32 v37, v68, s1, -v34
	v_fmac_f32_e32 v34, 0x3f6eb680, v68
	v_add_f32_e32 v27, v27, v34
	v_mul_f32_e32 v34, 0xbf7ee86f, v69
	v_add_f32_e32 v29, v29, v37
	v_fma_f32 v37, v68, s5, -v34
	v_fmac_f32_e32 v34, 0x3dbcf732, v68
	v_add_f32_e32 v31, v31, v34
	v_mul_f32_e32 v34, 0xbf06c442, v69
	v_add_f32_e32 v33, v33, v37
	v_mov_b32_e32 v37, v34
	v_fma_f32 v34, v68, s11, -v34
	v_fmac_f32_e32 v37, 0xbf59a7d5, v68
	v_add_f32_e32 v7, v7, v34
	v_mul_f32_e32 v34, 0xbf7ee86f, v65
	v_add_f32_e32 v35, v35, v37
	v_fma_f32 v37, v64, s5, -v34
	v_fmac_f32_e32 v34, 0x3dbcf732, v64
	v_add_f32_e32 v11, v11, v34
	v_mul_f32_e32 v34, 0xbe3c28d5, v65
	;; [unrolled: 37-line block ×5, first 2 shown]
	v_mul_f32_e32 v91, 0x3dbcf732, v36
	v_add_f32_e32 v13, v13, v37
	v_fma_f32 v37, v36, s10, -v34
	v_fmac_f32_e32 v34, 0x3ee437d1, v36
	v_mul_f32_e32 v92, 0xbf1a4643, v36
	v_add_f32_e32 v15, v15, v34
	v_add_f32_e32 v34, v91, v54
	;; [unrolled: 1-line block ×5, first 2 shown]
	v_mul_f32_e32 v34, 0xbeb8f4ab, v38
	v_add_f32_e32 v17, v17, v37
	v_fma_f32 v37, v36, s1, -v34
	v_fmac_f32_e32 v34, 0x3f6eb680, v36
	v_mul_f32_e32 v93, 0xbf59a7d5, v16
	v_add_f32_e32 v23, v23, v34
	v_mul_f32_e32 v34, 0xbe3c28d5, v38
	v_mul_f32_e32 v94, 0x3f3d2fb0, v16
	v_add_f32_e32 v25, v25, v37
	v_fma_f32 v37, v36, s7, -v34
	v_fmac_f32_e32 v34, 0xbf7ba420, v36
	v_add_f32_e32 v26, v93, v26
	v_add_f32_e32 v27, v27, v34
	v_mul_f32_e32 v34, 0x3f2c7751, v38
	v_add_f32_e32 v19, v19, v26
	v_add_f32_e32 v26, v94, v28
	;; [unrolled: 1-line block ×3, first 2 shown]
	v_fma_f32 v37, v36, s6, -v34
	v_fmac_f32_e32 v34, 0x3f3d2fb0, v36
	v_add_f32_e32 v21, v21, v26
	v_mul_f32_e32 v26, 0xbf4c4adb, v18
	v_add_f32_e32 v31, v31, v34
	v_mul_f32_e32 v34, 0xbf763a35, v38
	v_fma_f32 v28, v16, s4, -v26
	v_fmac_f32_e32 v26, 0xbf1a4643, v16
	v_add_f32_e32 v33, v33, v37
	v_mov_b32_e32 v37, v34
	v_fma_f32 v34, v36, s0, -v34
	v_add_f32_e32 v23, v23, v26
	v_mul_f32_e32 v26, 0x3f65296c, v18
	v_add_f32_e32 v7, v7, v34
	v_mul_f32_e32 v34, 0xbe3c28d5, v18
	v_add_f32_e32 v25, v25, v28
	v_fma_f32 v28, v16, s10, -v26
	v_fmac_f32_e32 v26, 0x3ee437d1, v16
	v_fmac_f32_e32 v37, 0xbe8c1d8e, v36
	v_fma_f32 v36, v16, s7, -v34
	v_fmac_f32_e32 v34, 0xbf7ba420, v16
	v_add_f32_e32 v26, v27, v26
	v_add_f32_e32 v27, v29, v28
	v_mul_f32_e32 v28, 0xbf763a35, v18
	v_add_f32_e32 v11, v11, v34
	v_mul_f32_e32 v34, 0x3eb8f4ab, v18
	v_fma_f32 v29, v16, s0, -v28
	v_fmac_f32_e32 v28, 0xbe8c1d8e, v16
	v_mul_f32_e32 v18, 0x3f7ee86f, v18
	v_add_f32_e32 v28, v31, v28
	v_mov_b32_e32 v31, v18
	v_add_f32_e32 v13, v13, v36
	v_fma_f32 v36, v16, s1, -v34
	v_fmac_f32_e32 v34, 0x3f6eb680, v16
	v_fmac_f32_e32 v31, 0x3dbcf732, v16
	v_fma_f32 v16, v16, s5, -v18
	v_add_f32_e32 v7, v7, v16
	v_lshlrev_b32_e32 v16, 6, v52
	v_add_f32_e32 v9, v39, v9
	v_add_f32_e32 v35, v35, v37
	v_add3_u32 v16, v24, v16, v4
	v_add_f32_e32 v15, v15, v34
	v_add_f32_e32 v17, v17, v36
	v_add_f32_e32 v29, v33, v29
	v_add_f32_e32 v31, v35, v31
	ds_write2_b32 v16, v9, v11 offset1:1
	ds_write2_b32 v16, v15, v19 offset0:2 offset1:3
	ds_write2_b32 v16, v21, v23 offset0:4 offset1:5
	;; [unrolled: 1-line block ×7, first 2 shown]
	ds_write_b32 v16, v13 offset:64
.LBB0_14:
	s_or_b64 exec, exec, s[2:3]
	s_movk_i32 s0, 0xf1
	v_mul_lo_u16_sdwa v7, v52, s0 dst_sel:DWORD dst_unused:UNUSED_PAD src0_sel:BYTE_0 src1_sel:DWORD
	v_lshrrev_b16_e32 v19, 12, v7
	v_mul_lo_u16_e32 v7, 17, v19
	v_sub_u16_e32 v31, v52, v7
	v_mov_b32_e32 v7, 12
	v_mul_u32_u24_sdwa v7, v31, v7 dst_sel:DWORD dst_unused:UNUSED_PAD src0_sel:BYTE_0 src1_sel:DWORD
	v_lshlrev_b32_e32 v7, 3, v7
	s_waitcnt lgkmcnt(0)
	s_barrier
	global_load_dwordx4 v[15:18], v7, s[8:9]
	global_load_dwordx4 v[59:62], v7, s[8:9] offset:16
	global_load_dwordx4 v[63:66], v7, s[8:9] offset:32
	;; [unrolled: 1-line block ×5, first 2 shown]
	ds_read_b32 v34, v32
	ds_read2_b32 v[26:27], v20 offset0:85 offset1:170
	ds_read2_b32 v[8:9], v8 offset0:127 offset1:212
	ds_read2_b32 v[79:80], v10 offset0:169 offset1:254
	ds_read2_b32 v[81:82], v14 offset0:83 offset1:168
	ds_read2_b32 v[83:84], v22 offset0:125 offset1:210
	ds_read2_b32 v[12:13], v12 offset0:167 offset1:252
	s_mov_b32 s4, 0x3df6dbef
	s_mov_b32 s6, 0x3f62ad3f
	;; [unrolled: 1-line block ×6, first 2 shown]
	s_movk_i32 s0, 0x374
	v_mad_u32_u24 v19, v19, s0, 0
	s_waitcnt vmcnt(0) lgkmcnt(0)
	s_barrier
	v_cmp_gt_u32_e64 s[0:1], 51, v52
	v_mul_f32_e32 v21, v26, v16
	v_mul_f32_e32 v56, v50, v16
	v_mul_f32_e32 v16, v27, v18
	v_mul_f32_e32 v37, v48, v60
	v_fma_f32 v57, v50, v15, -v21
	v_mul_f32_e32 v54, v51, v18
	v_mul_f32_e32 v18, v8, v60
	v_fma_f32 v50, v51, v17, -v16
	v_fmac_f32_e32 v37, v8, v59
	v_add_f32_e32 v8, v2, v57
	v_mul_f32_e32 v23, v9, v62
	v_fma_f32 v39, v48, v59, -v18
	v_add_f32_e32 v8, v8, v50
	v_mul_f32_e32 v33, v79, v64
	v_fma_f32 v35, v49, v61, -v23
	v_add_f32_e32 v8, v8, v39
	v_mul_f32_e32 v36, v80, v66
	v_fmac_f32_e32 v56, v26, v15
	v_fma_f32 v26, v46, v63, -v33
	v_add_f32_e32 v8, v8, v35
	v_mul_f32_e32 v60, v81, v68
	v_fma_f32 v21, v47, v65, -v36
	v_add_f32_e32 v8, v8, v26
	v_mul_f32_e32 v28, v49, v62
	v_mul_f32_e32 v62, v82, v70
	v_fma_f32 v23, v44, v67, -v60
	v_add_f32_e32 v8, v8, v21
	v_mul_f32_e32 v24, v46, v64
	v_mul_f32_e32 v64, v83, v72
	;; [unrolled: 1-line block ×3, first 2 shown]
	v_fmac_f32_e32 v54, v27, v17
	v_fma_f32 v27, v45, v69, -v62
	v_add_f32_e32 v8, v8, v23
	v_mul_f32_e32 v7, v47, v66
	v_mul_f32_e32 v25, v45, v70
	;; [unrolled: 1-line block ×5, first 2 shown]
	v_fma_f32 v36, v42, v71, -v64
	v_fmac_f32_e32 v58, v13, v77
	v_add_f32_e32 v8, v8, v27
	v_mul_f32_e32 v11, v44, v68
	v_mul_f32_e32 v29, v42, v72
	;; [unrolled: 1-line block ×3, first 2 shown]
	v_fma_f32 v42, v43, v73, -v66
	v_fmac_f32_e32 v55, v12, v75
	v_fma_f32 v41, v41, v77, -v70
	v_sub_f32_e32 v12, v56, v58
	v_add_f32_e32 v8, v8, v36
	v_fmac_f32_e32 v28, v9, v61
	v_fma_f32 v40, v40, v75, -v68
	v_add_f32_e32 v9, v57, v41
	v_mul_f32_e32 v16, 0xbf7e222b, v12
	v_add_f32_e32 v8, v8, v42
	v_fma_f32 v33, v9, s4, -v16
	v_add_f32_e32 v8, v8, v40
	v_mul_f32_e32 v13, 0xbeedf032, v12
	v_mul_f32_e32 v15, 0xbf52af12, v12
	v_add_f32_e32 v44, v8, v41
	v_add_f32_e32 v8, v2, v33
	v_mul_f32_e32 v33, 0xbf6f5d39, v12
	v_mul_f32_e32 v45, 0xbf29c268, v12
	;; [unrolled: 1-line block ×4, first 2 shown]
	v_fma_f32 v17, v9, s6, -v13
	v_fmac_f32_e32 v13, 0x3f62ad3f, v9
	v_fma_f32 v18, v9, s5, -v15
	v_fmac_f32_e32 v15, 0x3f116cb1, v9
	v_fmac_f32_e32 v16, 0x3df6dbef, v9
	v_fma_f32 v43, v9, s7, -v33
	v_fmac_f32_e32 v33, 0xbeb58ec6, v9
	v_fma_f32 v46, v9, s10, -v45
	;; [unrolled: 2-line block ×3, first 2 shown]
	v_fmac_f32_e32 v12, 0xbf788fa5, v9
	v_add_f32_e32 v17, v2, v17
	v_add_f32_e32 v13, v2, v13
	v_add_f32_e32 v18, v2, v18
	v_add_f32_e32 v15, v2, v15
	v_add_f32_e32 v16, v2, v16
	v_add_f32_e32 v43, v2, v43
	v_add_f32_e32 v33, v2, v33
	v_add_f32_e32 v46, v2, v46
	v_add_f32_e32 v45, v2, v45
	v_add_f32_e32 v47, v2, v47
	v_add_f32_e32 v2, v2, v12
	v_sub_f32_e32 v12, v54, v55
	v_add_f32_e32 v9, v50, v40
	v_mul_f32_e32 v48, 0xbf52af12, v12
	v_fma_f32 v49, v9, s5, -v48
	v_fmac_f32_e32 v48, 0x3f116cb1, v9
	v_add_f32_e32 v13, v48, v13
	v_mul_f32_e32 v48, 0xbf6f5d39, v12
	v_add_f32_e32 v17, v49, v17
	v_fma_f32 v49, v9, s7, -v48
	v_fmac_f32_e32 v48, 0xbeb58ec6, v9
	v_add_f32_e32 v15, v48, v15
	v_mul_f32_e32 v48, 0xbe750f2a, v12
	v_add_f32_e32 v18, v49, v18
	;; [unrolled: 5-line block ×4, first 2 shown]
	v_fma_f32 v49, v9, s4, -v48
	v_fmac_f32_e32 v48, 0x3df6dbef, v9
	v_mul_f32_e32 v12, 0x3eedf032, v12
	v_fmac_f32_e32 v38, v84, v73
	v_add_f32_e32 v45, v48, v45
	v_fma_f32 v48, v9, s6, -v12
	v_fmac_f32_e32 v12, 0x3f62ad3f, v9
	v_add_f32_e32 v2, v12, v2
	v_sub_f32_e32 v12, v37, v38
	v_add_f32_e32 v47, v48, v47
	v_add_f32_e32 v9, v39, v42
	v_mul_f32_e32 v48, 0xbf7e222b, v12
	v_add_f32_e32 v46, v49, v46
	v_fma_f32 v49, v9, s4, -v48
	v_fmac_f32_e32 v48, 0x3df6dbef, v9
	v_add_f32_e32 v13, v48, v13
	v_mul_f32_e32 v48, 0xbe750f2a, v12
	v_add_f32_e32 v17, v49, v17
	v_fma_f32 v49, v9, s11, -v48
	v_fmac_f32_e32 v48, 0xbf788fa5, v9
	;; [unrolled: 5-line block ×5, first 2 shown]
	v_mul_f32_e32 v12, 0xbf29c268, v12
	v_fmac_f32_e32 v29, v83, v71
	v_add_f32_e32 v45, v48, v45
	v_fma_f32 v48, v9, s10, -v12
	v_fmac_f32_e32 v12, 0xbf3f9e67, v9
	v_add_f32_e32 v2, v12, v2
	v_sub_f32_e32 v12, v28, v29
	v_add_f32_e32 v47, v48, v47
	v_add_f32_e32 v9, v35, v36
	v_mul_f32_e32 v48, 0xbf6f5d39, v12
	v_add_f32_e32 v46, v49, v46
	v_fma_f32 v49, v9, s7, -v48
	v_fmac_f32_e32 v48, 0xbeb58ec6, v9
	v_add_f32_e32 v13, v48, v13
	v_mul_f32_e32 v48, 0x3f29c268, v12
	v_add_f32_e32 v17, v49, v17
	v_fma_f32 v49, v9, s10, -v48
	v_fmac_f32_e32 v48, 0xbf3f9e67, v9
	;; [unrolled: 5-line block ×5, first 2 shown]
	v_mul_f32_e32 v12, 0x3f52af12, v12
	v_fmac_f32_e32 v24, v79, v63
	v_fmac_f32_e32 v25, v82, v69
	v_add_f32_e32 v45, v48, v45
	v_fma_f32 v48, v9, s5, -v12
	v_fmac_f32_e32 v12, 0x3f116cb1, v9
	v_add_f32_e32 v2, v12, v2
	v_sub_f32_e32 v12, v24, v25
	v_add_f32_e32 v47, v48, v47
	v_add_f32_e32 v9, v26, v27
	v_mul_f32_e32 v48, 0xbf29c268, v12
	v_add_f32_e32 v46, v49, v46
	v_fma_f32 v49, v9, s10, -v48
	v_fmac_f32_e32 v48, 0xbf3f9e67, v9
	v_add_f32_e32 v13, v48, v13
	v_mul_f32_e32 v48, 0x3f7e222b, v12
	v_add_f32_e32 v17, v49, v17
	v_fma_f32 v49, v9, s4, -v48
	v_fmac_f32_e32 v48, 0x3df6dbef, v9
	;; [unrolled: 5-line block ×4, first 2 shown]
	v_add_f32_e32 v33, v48, v33
	v_mul_f32_e32 v48, 0x3eedf032, v12
	v_fmac_f32_e32 v7, v80, v65
	v_fmac_f32_e32 v11, v81, v67
	v_add_f32_e32 v43, v49, v43
	v_fma_f32 v49, v9, s6, -v48
	v_fmac_f32_e32 v48, 0x3f62ad3f, v9
	v_mul_f32_e32 v12, 0xbf6f5d39, v12
	v_add_f32_e32 v46, v49, v46
	v_add_f32_e32 v45, v48, v45
	v_fma_f32 v48, v9, s7, -v12
	v_fmac_f32_e32 v12, 0xbeb58ec6, v9
	v_sub_f32_e32 v49, v7, v11
	v_add_f32_e32 v47, v48, v47
	v_add_f32_e32 v12, v12, v2
	;; [unrolled: 1-line block ×3, first 2 shown]
	v_mul_f32_e32 v2, 0xbe750f2a, v49
	v_fma_f32 v9, v48, s11, -v2
	v_add_f32_e32 v17, v9, v17
	v_fmac_f32_e32 v2, 0xbf788fa5, v48
	v_mul_f32_e32 v9, 0x3eedf032, v49
	v_add_f32_e32 v2, v2, v13
	v_fma_f32 v13, v48, s6, -v9
	v_fmac_f32_e32 v9, 0x3f62ad3f, v48
	v_add_f32_e32 v9, v9, v15
	v_mul_f32_e32 v15, 0xbf29c268, v49
	v_add_f32_e32 v13, v13, v18
	v_fma_f32 v18, v48, s10, -v15
	v_fmac_f32_e32 v15, 0xbf3f9e67, v48
	v_add_f32_e32 v18, v18, v8
	v_add_f32_e32 v8, v15, v16
	v_mul_f32_e32 v15, 0x3f52af12, v49
	v_fma_f32 v16, v48, s5, -v15
	v_fmac_f32_e32 v15, 0x3f116cb1, v48
	v_add_f32_e32 v15, v15, v33
	v_mul_f32_e32 v33, 0xbf6f5d39, v49
	v_add_f32_e32 v16, v16, v43
	v_fma_f32 v43, v48, s7, -v33
	v_add_f32_e32 v46, v43, v46
	v_fmac_f32_e32 v33, 0xbeb58ec6, v48
	v_mul_f32_e32 v43, 0x3f7e222b, v49
	v_add_f32_e32 v33, v33, v45
	v_fma_f32 v45, v48, s4, -v43
	v_fmac_f32_e32 v43, 0x3df6dbef, v48
	v_add_f32_e32 v12, v43, v12
	v_mov_b32_e32 v43, 2
	v_lshlrev_b32_sdwa v31, v43, v31 dst_sel:DWORD dst_unused:UNUSED_PAD src0_sel:DWORD src1_sel:BYTE_0
	v_add3_u32 v43, v19, v31, v4
	v_add_f32_e32 v45, v45, v47
	ds_write2_b32 v43, v44, v17 offset1:17
	ds_write2_b32 v43, v13, v18 offset0:34 offset1:51
	ds_write2_b32 v43, v16, v46 offset0:68 offset1:85
	;; [unrolled: 1-line block ×5, first 2 shown]
	ds_write_b32 v43, v2 offset:816
	s_waitcnt lgkmcnt(0)
	s_barrier
	ds_read2_b32 v[12:13], v20 offset0:85 offset1:221
	ds_read2_b32 v[18:19], v10 offset0:50 offset1:186
	;; [unrolled: 1-line block ×4, first 2 shown]
	ds_read_b32 v31, v32
	ds_read_b32 v33, v20 offset:3876
	s_and_saveexec_b64 s[2:3], s[0:1]
	s_cbranch_execz .LBB0_16
; %bb.15:
	v_add_u32_e32 v2, 0x280, v20
	ds_read2_b32 v[8:9], v2 offset0:10 offset1:231
	v_add_u32_e32 v2, 0x980, v20
	ds_read2_b32 v[2:3], v2 offset0:4 offset1:225
	ds_read_b32 v53, v20 offset:4216
.LBB0_16:
	s_or_b64 exec, exec, s[2:3]
	v_add_f32_e32 v4, v34, v56
	v_add_f32_e32 v4, v4, v54
	;; [unrolled: 1-line block ×11, first 2 shown]
	v_sub_f32_e32 v10, v57, v41
	v_add_f32_e32 v22, v4, v58
	v_add_f32_e32 v4, v56, v58
	v_mul_f32_e32 v41, 0xbeedf032, v10
	v_mul_f32_e32 v45, 0xbf52af12, v10
	;; [unrolled: 1-line block ×6, first 2 shown]
	v_mov_b32_e32 v44, v41
	v_mov_b32_e32 v46, v45
	;; [unrolled: 1-line block ×6, first 2 shown]
	v_fmac_f32_e32 v44, 0x3f62ad3f, v4
	v_fma_f32 v41, v4, s6, -v41
	v_fmac_f32_e32 v46, 0x3f116cb1, v4
	v_fma_f32 v45, v4, s5, -v45
	;; [unrolled: 2-line block ×6, first 2 shown]
	v_add_f32_e32 v44, v34, v44
	v_add_f32_e32 v41, v34, v41
	v_add_f32_e32 v46, v34, v46
	v_add_f32_e32 v45, v34, v45
	v_add_f32_e32 v48, v34, v48
	v_add_f32_e32 v47, v34, v47
	v_add_f32_e32 v51, v34, v51
	v_add_f32_e32 v49, v34, v49
	v_add_f32_e32 v57, v34, v57
	v_add_f32_e32 v56, v34, v56
	v_add_f32_e32 v58, v34, v58
	v_add_f32_e32 v4, v34, v4
	v_sub_f32_e32 v34, v50, v40
	v_add_f32_e32 v10, v54, v55
	v_mul_f32_e32 v40, 0xbf52af12, v34
	v_mov_b32_e32 v50, v40
	v_fma_f32 v40, v10, s5, -v40
	v_fmac_f32_e32 v50, 0x3f116cb1, v10
	v_add_f32_e32 v40, v40, v41
	v_mul_f32_e32 v41, 0xbf6f5d39, v34
	v_add_f32_e32 v44, v50, v44
	v_mov_b32_e32 v50, v41
	v_fma_f32 v41, v10, s7, -v41
	v_fmac_f32_e32 v50, 0xbeb58ec6, v10
	v_add_f32_e32 v41, v41, v45
	v_mul_f32_e32 v45, 0xbe750f2a, v34
	v_add_f32_e32 v46, v50, v46
	;; [unrolled: 6-line block ×3, first 2 shown]
	v_mov_b32_e32 v50, v47
	v_fma_f32 v47, v10, s10, -v47
	v_fmac_f32_e32 v50, 0xbf3f9e67, v10
	v_add_f32_e32 v47, v47, v49
	v_mul_f32_e32 v49, 0x3f7e222b, v34
	v_mul_f32_e32 v34, 0x3eedf032, v34
	v_add_f32_e32 v50, v50, v51
	v_mov_b32_e32 v51, v49
	v_mov_b32_e32 v54, v34
	v_fmac_f32_e32 v51, 0x3df6dbef, v10
	v_fma_f32 v49, v10, s4, -v49
	v_fmac_f32_e32 v54, 0x3f62ad3f, v10
	v_fma_f32 v10, v10, s6, -v34
	v_sub_f32_e32 v34, v39, v42
	v_add_f32_e32 v4, v10, v4
	v_add_f32_e32 v10, v37, v38
	v_mul_f32_e32 v37, 0xbf7e222b, v34
	v_mov_b32_e32 v38, v37
	v_fma_f32 v37, v10, s4, -v37
	v_mul_f32_e32 v39, 0xbe750f2a, v34
	v_add_f32_e32 v37, v37, v40
	v_mov_b32_e32 v40, v39
	v_fma_f32 v39, v10, s11, -v39
	v_fmac_f32_e32 v38, 0x3df6dbef, v10
	v_add_f32_e32 v39, v39, v41
	v_mul_f32_e32 v41, 0x3f6f5d39, v34
	v_add_f32_e32 v38, v38, v44
	v_fmac_f32_e32 v40, 0xbf788fa5, v10
	v_mov_b32_e32 v42, v41
	v_fma_f32 v41, v10, s7, -v41
	v_mul_f32_e32 v44, 0x3eedf032, v34
	v_add_f32_e32 v40, v40, v46
	v_fmac_f32_e32 v42, 0xbeb58ec6, v10
	v_add_f32_e32 v41, v41, v45
	v_mov_b32_e32 v45, v44
	v_fma_f32 v44, v10, s6, -v44
	v_mul_f32_e32 v46, 0xbf52af12, v34
	v_mul_f32_e32 v34, 0xbf29c268, v34
	v_add_f32_e32 v42, v42, v48
	v_add_f32_e32 v44, v44, v47
	v_mov_b32_e32 v47, v46
	v_mov_b32_e32 v48, v34
	v_fmac_f32_e32 v45, 0x3f62ad3f, v10
	v_fmac_f32_e32 v47, 0x3f116cb1, v10
	v_fma_f32 v46, v10, s5, -v46
	v_fmac_f32_e32 v48, 0xbf3f9e67, v10
	v_fma_f32 v10, v10, s10, -v34
	v_add_f32_e32 v4, v10, v4
	v_add_f32_e32 v10, v28, v29
	v_sub_f32_e32 v28, v35, v36
	v_mul_f32_e32 v29, 0xbf6f5d39, v28
	v_mov_b32_e32 v34, v29
	v_fma_f32 v29, v10, s7, -v29
	v_mul_f32_e32 v35, 0x3f29c268, v28
	v_fmac_f32_e32 v34, 0xbeb58ec6, v10
	v_add_f32_e32 v29, v29, v37
	v_mov_b32_e32 v36, v35
	v_fma_f32 v35, v10, s10, -v35
	v_mul_f32_e32 v37, 0x3eedf032, v28
	v_add_f32_e32 v34, v34, v38
	v_fmac_f32_e32 v36, 0xbf3f9e67, v10
	v_add_f32_e32 v35, v35, v39
	v_mov_b32_e32 v38, v37
	v_fma_f32 v37, v10, s6, -v37
	v_mul_f32_e32 v39, 0xbf7e222b, v28
	v_add_f32_e32 v36, v36, v40
	v_fmac_f32_e32 v38, 0x3f62ad3f, v10
	v_add_f32_e32 v37, v37, v41
	v_mov_b32_e32 v40, v39
	v_fma_f32 v39, v10, s4, -v39
	v_mul_f32_e32 v41, 0x3e750f2a, v28
	v_mul_f32_e32 v28, 0x3f52af12, v28
	v_add_f32_e32 v38, v38, v42
	v_add_f32_e32 v39, v39, v44
	v_mov_b32_e32 v42, v41
	v_mov_b32_e32 v44, v28
	v_fmac_f32_e32 v40, 0x3df6dbef, v10
	v_fmac_f32_e32 v42, 0xbf788fa5, v10
	v_fma_f32 v41, v10, s11, -v41
	v_fmac_f32_e32 v44, 0x3f116cb1, v10
	v_fma_f32 v10, v10, s5, -v28
	v_add_f32_e32 v4, v10, v4
	v_add_f32_e32 v10, v24, v25
	v_sub_f32_e32 v24, v26, v27
	v_mul_f32_e32 v25, 0xbf29c268, v24
	v_mov_b32_e32 v26, v25
	v_fma_f32 v25, v10, s10, -v25
	v_mul_f32_e32 v27, 0x3f7e222b, v24
	v_fmac_f32_e32 v26, 0xbf3f9e67, v10
	v_add_f32_e32 v25, v25, v29
	v_mov_b32_e32 v28, v27
	v_fma_f32 v27, v10, s4, -v27
	v_mul_f32_e32 v29, 0xbf52af12, v24
	v_add_f32_e32 v26, v26, v34
	v_fmac_f32_e32 v28, 0x3df6dbef, v10
	v_add_f32_e32 v27, v27, v35
	v_mov_b32_e32 v34, v29
	v_fma_f32 v29, v10, s5, -v29
	v_mul_f32_e32 v35, 0x3e750f2a, v24
	v_add_f32_e32 v28, v28, v36
	v_fmac_f32_e32 v34, 0x3f116cb1, v10
	v_add_f32_e32 v29, v29, v37
	v_mov_b32_e32 v36, v35
	v_fma_f32 v35, v10, s11, -v35
	v_mul_f32_e32 v37, 0x3eedf032, v24
	v_mul_f32_e32 v24, 0xbf6f5d39, v24
	v_add_f32_e32 v34, v34, v38
	v_add_f32_e32 v35, v35, v39
	v_mov_b32_e32 v38, v37
	v_mov_b32_e32 v39, v24
	v_fmac_f32_e32 v36, 0xbf788fa5, v10
	v_fmac_f32_e32 v38, 0x3f62ad3f, v10
	v_fma_f32 v37, v10, s6, -v37
	v_fmac_f32_e32 v39, 0xbeb58ec6, v10
	v_fma_f32 v10, v10, s7, -v24
	v_sub_f32_e32 v21, v21, v23
	v_add_f32_e32 v24, v10, v4
	v_mul_f32_e32 v4, 0xbe750f2a, v21
	v_add_f32_e32 v7, v7, v11
	v_mov_b32_e32 v10, v4
	v_fmac_f32_e32 v10, 0xbf788fa5, v7
	v_add_f32_e32 v23, v10, v26
	v_mul_f32_e32 v10, 0x3eedf032, v21
	v_mov_b32_e32 v11, v10
	v_fma_f32 v4, v7, s11, -v4
	v_fmac_f32_e32 v11, 0x3f62ad3f, v7
	v_fma_f32 v10, v7, s6, -v10
	v_add_f32_e32 v4, v4, v25
	v_add_f32_e32 v25, v11, v28
	;; [unrolled: 1-line block ×3, first 2 shown]
	v_mul_f32_e32 v10, 0xbf29c268, v21
	v_mov_b32_e32 v26, v10
	v_fma_f32 v10, v7, s10, -v10
	v_mul_f32_e32 v27, 0x3f52af12, v21
	v_add_f32_e32 v51, v51, v57
	v_add_f32_e32 v49, v49, v56
	;; [unrolled: 1-line block ×3, first 2 shown]
	v_fmac_f32_e32 v26, 0xbf3f9e67, v7
	v_add_f32_e32 v10, v10, v29
	v_mov_b32_e32 v28, v27
	v_fma_f32 v27, v7, s5, -v27
	v_mul_f32_e32 v29, 0xbf6f5d39, v21
	v_mul_f32_e32 v21, 0x3f7e222b, v21
	v_add_f32_e32 v45, v45, v50
	v_add_f32_e32 v47, v47, v51
	;; [unrolled: 1-line block ×6, first 2 shown]
	v_mov_b32_e32 v34, v29
	v_mov_b32_e32 v35, v21
	v_add_f32_e32 v40, v40, v45
	v_add_f32_e32 v42, v42, v47
	v_add_f32_e32 v41, v41, v46
	v_add_f32_e32 v44, v44, v48
	v_fmac_f32_e32 v28, 0x3f116cb1, v7
	v_fmac_f32_e32 v34, 0xbeb58ec6, v7
	v_fma_f32 v29, v7, s7, -v29
	v_fmac_f32_e32 v35, 0x3df6dbef, v7
	v_fma_f32 v7, v7, s4, -v21
	v_add_f32_e32 v36, v36, v40
	v_add_f32_e32 v38, v38, v42
	;; [unrolled: 1-line block ×9, first 2 shown]
	s_waitcnt lgkmcnt(0)
	s_barrier
	ds_write2_b32 v43, v22, v23 offset1:17
	ds_write2_b32 v43, v25, v26 offset0:34 offset1:51
	ds_write2_b32 v43, v28, v34 offset0:68 offset1:85
	;; [unrolled: 1-line block ×5, first 2 shown]
	ds_write_b32 v43, v4 offset:816
	v_add_u32_e32 v7, 0x400, v20
	s_waitcnt lgkmcnt(0)
	s_barrier
	ds_read2_b32 v[26:27], v7 offset0:50 offset1:186
	v_add_u32_e32 v7, 0x800, v20
	ds_read2_b32 v[28:29], v7 offset0:15 offset1:151
	v_add_u32_e32 v7, 0xa00, v20
	ds_read2_b32 v[22:23], v20 offset0:85 offset1:221
	ds_read2_b32 v[24:25], v7 offset0:108 offset1:244
	ds_read_b32 v32, v32
	ds_read_b32 v34, v20 offset:3876
	s_and_saveexec_b64 s[2:3], s[0:1]
	s_cbranch_execz .LBB0_18
; %bb.17:
	v_add_u32_e32 v4, 0x280, v20
	ds_read2_b32 v[10:11], v4 offset0:10 offset1:231
	v_add_u32_e32 v4, 0x980, v20
	ds_read2_b32 v[4:5], v4 offset0:4 offset1:225
	ds_read_b32 v30, v20 offset:4216
.LBB0_18:
	s_or_b64 exec, exec, s[2:3]
	s_and_saveexec_b64 s[2:3], vcc
	s_cbranch_execz .LBB0_21
; %bb.19:
	v_add_u32_e32 v51, 0x55, v52
	v_lshlrev_b32_e32 v20, 2, v51
	v_mov_b32_e32 v21, 0
	v_lshlrev_b64 v[35:36], 3, v[20:21]
	v_mov_b32_e32 v20, s9
	v_add_co_u32_e32 v43, vcc, s8, v35
	v_addc_co_u32_e32 v44, vcc, v20, v36, vcc
	global_load_dwordx4 v[35:38], v[43:44], off offset:1632
	global_load_dwordx4 v[39:42], v[43:44], off offset:1648
	v_mov_b32_e32 v7, v21
	v_lshlrev_b64 v[6:7], 3, v[6:7]
	s_movk_i32 s4, 0x374
	v_add_co_u32_e32 v6, vcc, s8, v6
	v_addc_co_u32_e32 v7, vcc, v20, v7, vcc
	global_load_dwordx4 v[43:46], v[6:7], off offset:1632
	global_load_dwordx4 v[47:50], v[6:7], off offset:1648
	v_add_co_u32_e32 v0, vcc, s14, v0
	s_waitcnt vmcnt(3)
	v_mul_f32_e32 v20, v16, v38
	v_mul_f32_e32 v6, v18, v36
	s_waitcnt vmcnt(2)
	v_mul_f32_e32 v54, v14, v40
	v_mul_f32_e32 v55, v33, v42
	s_waitcnt lgkmcnt(5)
	v_mul_f32_e32 v7, v26, v36
	s_waitcnt lgkmcnt(0)
	v_mul_f32_e32 v36, v34, v42
	v_mul_f32_e32 v38, v28, v38
	;; [unrolled: 1-line block ×3, first 2 shown]
	v_fmac_f32_e32 v6, v26, v35
	v_fmac_f32_e32 v55, v34, v41
	v_fma_f32 v7, v18, v35, -v7
	v_fma_f32 v18, v33, v41, -v36
	;; [unrolled: 1-line block ×4, first 2 shown]
	v_fmac_f32_e32 v20, v28, v37
	v_fmac_f32_e32 v54, v24, v39
	v_add_f32_e32 v33, v6, v55
	v_add_f32_e32 v36, v7, v18
	;; [unrolled: 1-line block ×3, first 2 shown]
	v_sub_f32_e32 v24, v20, v6
	v_sub_f32_e32 v26, v54, v55
	;; [unrolled: 1-line block ×9, first 2 shown]
	v_add_f32_e32 v59, v22, v6
	v_add_f32_e32 v60, v12, v7
	v_fma_f32 v7, -0.5, v33, v22
	v_fma_f32 v6, -0.5, v36, v12
	;; [unrolled: 1-line block ×3, first 2 shown]
	v_sub_f32_e32 v41, v16, v14
	v_sub_f32_e32 v42, v20, v54
	v_add_f32_e32 v24, v24, v26
	v_add_f32_e32 v26, v34, v35
	;; [unrolled: 1-line block ×3, first 2 shown]
	v_mov_b32_e32 v36, v7
	v_mov_b32_e32 v35, v6
	;; [unrolled: 1-line block ×3, first 2 shown]
	v_add_f32_e32 v39, v20, v54
	v_sub_f32_e32 v57, v18, v14
	v_fmac_f32_e32 v7, 0x3f737871, v41
	v_fmac_f32_e32 v6, 0xbf737871, v42
	v_fmac_f32_e32 v33, 0xbf737871, v56
	v_fmac_f32_e32 v36, 0xbf737871, v41
	v_fmac_f32_e32 v35, 0x3f737871, v42
	v_fmac_f32_e32 v37, 0x3f737871, v56
	v_fma_f32 v34, -0.5, v39, v22
	v_add_f32_e32 v22, v40, v57
	v_fmac_f32_e32 v7, 0xbf167918, v28
	v_fmac_f32_e32 v6, 0x3f167918, v56
	;; [unrolled: 1-line block ×6, first 2 shown]
	v_add_f32_e32 v12, v20, v59
	v_add_f32_e32 v16, v16, v60
	v_fmac_f32_e32 v7, 0x3e9e377a, v24
	v_fmac_f32_e32 v6, 0x3e9e377a, v26
	;; [unrolled: 1-line block ×6, first 2 shown]
	s_waitcnt vmcnt(1)
	v_mul_f32_e32 v20, v13, v44
	v_mul_f32_e32 v22, v19, v46
	s_waitcnt vmcnt(0)
	v_mul_f32_e32 v24, v15, v50
	v_mul_f32_e32 v26, v17, v48
	v_add_f32_e32 v12, v54, v12
	v_add_f32_e32 v14, v16, v14
	v_fmac_f32_e32 v20, v23, v43
	v_fmac_f32_e32 v22, v27, v45
	;; [unrolled: 1-line block ×4, first 2 shown]
	v_mov_b32_e32 v38, v34
	v_add_f32_e32 v40, v12, v55
	v_add_f32_e32 v39, v14, v18
	v_sub_f32_e32 v12, v20, v22
	v_sub_f32_e32 v14, v24, v26
	v_fmac_f32_e32 v34, 0x3f737871, v28
	v_fmac_f32_e32 v38, 0xbf737871, v28
	v_add_f32_e32 v28, v12, v14
	v_mul_f32_e32 v12, v27, v46
	v_fma_f32 v27, v19, v45, -v12
	v_mul_f32_e32 v12, v29, v48
	v_fma_f32 v29, v17, v47, -v12
	v_mul_f32_e32 v12, v23, v44
	v_sub_f32_e32 v16, v22, v20
	v_sub_f32_e32 v17, v26, v24
	v_fma_f32 v42, v13, v43, -v12
	v_mul_f32_e32 v12, v25, v50
	v_add_f32_e32 v46, v16, v17
	v_add_f32_e32 v16, v20, v24
	v_fma_f32 v43, v15, v49, -v12
	v_add_f32_e32 v12, v22, v26
	v_fma_f32 v17, -0.5, v16, v32
	v_fmac_f32_e32 v34, 0x3f167918, v41
	v_fmac_f32_e32 v38, 0xbf167918, v41
	v_sub_f32_e32 v41, v27, v29
	v_fma_f32 v13, -0.5, v12, v32
	v_sub_f32_e32 v12, v42, v27
	v_sub_f32_e32 v14, v43, v29
	v_mov_b32_e32 v19, v17
	v_sub_f32_e32 v23, v42, v43
	v_mov_b32_e32 v15, v13
	v_add_f32_e32 v25, v12, v14
	v_add_f32_e32 v12, v27, v29
	v_sub_f32_e32 v44, v20, v24
	v_fmac_f32_e32 v19, 0xbf737871, v41
	v_fmac_f32_e32 v17, 0x3f737871, v41
	v_add_f32_e32 v20, v32, v20
	v_fmac_f32_e32 v15, 0x3f737871, v23
	v_fma_f32 v12, -0.5, v12, v31
	v_sub_f32_e32 v45, v22, v26
	v_fmac_f32_e32 v19, 0x3f167918, v23
	v_fmac_f32_e32 v17, 0xbf167918, v23
	v_fmac_f32_e32 v13, 0xbf737871, v23
	v_add_f32_e32 v20, v20, v22
	v_mad_u64_u32 v[22:23], s[2:3], s12, v52, 0
	v_mov_b32_e32 v14, v12
	v_fmac_f32_e32 v14, 0xbf737871, v44
	v_fmac_f32_e32 v12, 0x3f737871, v44
	;; [unrolled: 1-line block ×6, first 2 shown]
	v_add_f32_e32 v20, v20, v26
	v_fmac_f32_e32 v15, 0x3e9e377a, v28
	v_fmac_f32_e32 v14, 0x3e9e377a, v25
	;; [unrolled: 1-line block ×4, first 2 shown]
	v_add_f32_e32 v25, v24, v20
	v_add_f32_e32 v26, v31, v42
	v_mov_b32_e32 v20, v23
	v_add_u32_e32 v28, 0xdd, v52
	v_sub_f32_e32 v16, v27, v42
	v_mad_u64_u32 v[23:24], s[2:3], s13, v52, v[20:21]
	v_add_f32_e32 v20, v26, v27
	v_mad_u64_u32 v[26:27], s[2:3], s12, v28, 0
	v_add_f32_e32 v20, v20, v29
	v_add_f32_e32 v24, v43, v20
	v_mov_b32_e32 v20, s15
	v_addc_co_u32_e32 v1, vcc, v20, v1, vcc
	v_mov_b32_e32 v20, v27
	v_lshlrev_b64 v[22:23], 3, v[22:23]
	v_mad_u64_u32 v[27:28], s[2:3], s13, v28, v[20:21]
	v_add_co_u32_e32 v22, vcc, v0, v22
	v_addc_co_u32_e32 v23, vcc, v1, v23, vcc
	global_store_dwordx2 v[22:23], v[24:25], off
	v_lshlrev_b64 v[22:23], 3, v[26:27]
	v_add_u32_e32 v26, 0x1ba, v52
	v_mad_u64_u32 v[24:25], s[2:3], s12, v26, 0
	v_add_u32_e32 v28, 0x297, v52
	v_sub_f32_e32 v18, v29, v43
	v_mov_b32_e32 v20, v25
	v_mad_u64_u32 v[25:26], s[2:3], s13, v26, v[20:21]
	v_add_co_u32_e32 v22, vcc, v0, v22
	v_mad_u64_u32 v[26:27], s[2:3], s12, v28, 0
	v_add_f32_e32 v47, v16, v18
	v_add_f32_e32 v16, v42, v43
	v_addc_co_u32_e32 v23, vcc, v1, v23, vcc
	v_fma_f32 v16, -0.5, v16, v31
	global_store_dwordx2 v[22:23], v[12:13], off
	v_lshlrev_b64 v[12:13], 3, v[24:25]
	v_mov_b32_e32 v18, v16
	v_fmac_f32_e32 v16, 0xbf737871, v45
	v_fmac_f32_e32 v16, 0x3f167918, v44
	v_mov_b32_e32 v20, v27
	v_add_co_u32_e32 v12, vcc, v0, v12
	v_fmac_f32_e32 v17, 0x3e9e377a, v46
	v_fmac_f32_e32 v16, 0x3e9e377a, v47
	v_mad_u64_u32 v[22:23], s[2:3], s13, v28, v[20:21]
	v_addc_co_u32_e32 v13, vcc, v1, v13, vcc
	v_add_u32_e32 v20, 0x374, v52
	global_store_dwordx2 v[12:13], v[16:17], off
	v_mad_u64_u32 v[16:17], s[2:3], s12, v20, 0
	s_mov_b32 s2, 0x288b0129
	v_mul_hi_u32 v24, v51, s2
	v_fmac_f32_e32 v18, 0x3f737871, v45
	v_fmac_f32_e32 v18, 0xbf167918, v44
	;; [unrolled: 1-line block ×3, first 2 shown]
	v_mov_b32_e32 v27, v22
	v_mad_u64_u32 v[22:23], s[2:3], s13, v20, v[17:18]
	v_sub_u32_e32 v17, v51, v24
	v_lshrrev_b32_e32 v17, 1, v17
	v_add_u32_e32 v17, v17, v24
	v_lshrrev_b32_e32 v17, 7, v17
	v_mad_u32_u24 v20, v17, s4, v51
	v_lshlrev_b64 v[12:13], 3, v[26:27]
	v_mad_u64_u32 v[23:24], s[2:3], s12, v20, 0
	v_add_co_u32_e32 v12, vcc, v0, v12
	v_fmac_f32_e32 v19, 0x3e9e377a, v46
	v_addc_co_u32_e32 v13, vcc, v1, v13, vcc
	v_mov_b32_e32 v17, v22
	global_store_dwordx2 v[12:13], v[18:19], off
	v_lshlrev_b64 v[12:13], 3, v[16:17]
	v_mov_b32_e32 v16, v24
	v_mad_u64_u32 v[16:17], s[2:3], s13, v20, v[16:17]
	v_add_co_u32_e32 v12, vcc, v0, v12
	v_addc_co_u32_e32 v13, vcc, v1, v13, vcc
	v_mov_b32_e32 v24, v16
	v_add_u32_e32 v16, 0xdd, v20
	global_store_dwordx2 v[12:13], v[14:15], off
	v_mad_u64_u32 v[14:15], s[2:3], s12, v16, 0
	v_add_u32_e32 v18, 0x1ba, v20
	v_lshlrev_b64 v[12:13], 3, v[23:24]
	v_mad_u64_u32 v[15:16], s[2:3], s13, v16, v[15:16]
	v_mad_u64_u32 v[16:17], s[2:3], s12, v18, 0
	v_add_co_u32_e32 v12, vcc, v0, v12
	v_addc_co_u32_e32 v13, vcc, v1, v13, vcc
	global_store_dwordx2 v[12:13], v[39:40], off
	v_lshlrev_b64 v[12:13], 3, v[14:15]
	v_mov_b32_e32 v14, v17
	v_mad_u64_u32 v[14:15], s[2:3], s13, v18, v[14:15]
	v_add_co_u32_e32 v12, vcc, v0, v12
	v_fmac_f32_e32 v38, 0x3e9e377a, v61
	v_addc_co_u32_e32 v13, vcc, v1, v13, vcc
	v_mov_b32_e32 v17, v14
	global_store_dwordx2 v[12:13], v[37:38], off
	v_lshlrev_b64 v[12:13], 3, v[16:17]
	v_add_u32_e32 v16, 0x297, v20
	v_mad_u64_u32 v[14:15], s[2:3], s12, v16, 0
	v_add_u32_e32 v18, 0x374, v20
	v_add_co_u32_e32 v12, vcc, v0, v12
	v_mad_u64_u32 v[15:16], s[2:3], s13, v16, v[15:16]
	v_mad_u64_u32 v[16:17], s[2:3], s12, v18, 0
	v_addc_co_u32_e32 v13, vcc, v1, v13, vcc
	global_store_dwordx2 v[12:13], v[6:7], off
	v_mov_b32_e32 v12, v17
	v_mad_u64_u32 v[12:13], s[2:3], s13, v18, v[12:13]
	v_lshlrev_b64 v[6:7], 3, v[14:15]
	v_fmac_f32_e32 v34, 0x3e9e377a, v61
	v_add_co_u32_e32 v6, vcc, v0, v6
	v_addc_co_u32_e32 v7, vcc, v1, v7, vcc
	v_mov_b32_e32 v17, v12
	global_store_dwordx2 v[6:7], v[35:36], off
	v_lshlrev_b64 v[6:7], 3, v[16:17]
	v_add_co_u32_e32 v6, vcc, v0, v6
	v_addc_co_u32_e32 v7, vcc, v1, v7, vcc
	global_store_dwordx2 v[6:7], v[33:34], off
	s_and_b64 exec, exec, s[0:1]
	s_cbranch_execz .LBB0_21
; %bb.20:
	v_add_u32_e32 v22, 0xaa, v52
	v_subrev_u32_e32 v6, 51, v52
	v_cndmask_b32_e64 v6, v6, v22, s[0:1]
	v_lshlrev_b32_e32 v20, 2, v6
	v_lshlrev_b64 v[6:7], 3, v[20:21]
	v_mov_b32_e32 v12, s9
	v_add_co_u32_e32 v6, vcc, s8, v6
	v_addc_co_u32_e32 v7, vcc, v12, v7, vcc
	global_load_dwordx4 v[12:15], v[6:7], off offset:1632
	global_load_dwordx4 v[16:19], v[6:7], off offset:1648
	v_mad_u64_u32 v[6:7], s[0:1], s12, v22, 0
	v_mad_u64_u32 v[20:21], s[0:1], s13, v22, v[7:8]
	v_mov_b32_e32 v7, v20
	v_lshlrev_b64 v[6:7], 3, v[6:7]
	v_add_co_u32_e32 v6, vcc, v0, v6
	v_addc_co_u32_e32 v7, vcc, v1, v7, vcc
	s_waitcnt vmcnt(1)
	v_mul_f32_e32 v20, v11, v13
	v_mul_f32_e32 v13, v9, v13
	;; [unrolled: 1-line block ×4, first 2 shown]
	s_waitcnt vmcnt(0)
	v_mul_f32_e32 v22, v5, v17
	v_mul_f32_e32 v17, v3, v17
	;; [unrolled: 1-line block ×3, first 2 shown]
	v_fma_f32 v9, v9, v12, -v20
	v_fmac_f32_e32 v13, v11, v12
	v_fma_f32 v2, v2, v14, -v21
	v_fmac_f32_e32 v15, v4, v14
	;; [unrolled: 2-line block ×3, first 2 shown]
	v_mul_f32_e32 v19, v53, v19
	v_fma_f32 v14, v53, v18, -v23
	v_add_f32_e32 v3, v8, v9
	v_add_f32_e32 v5, v2, v4
	;; [unrolled: 1-line block ×4, first 2 shown]
	v_fmac_f32_e32 v19, v30, v18
	v_sub_f32_e32 v11, v9, v2
	v_add_f32_e32 v20, v9, v14
	v_sub_f32_e32 v21, v2, v9
	v_sub_f32_e32 v25, v2, v4
	v_add_f32_e32 v30, v3, v2
	v_fma_f32 v2, -0.5, v5, v8
	v_add_f32_e32 v5, v23, v15
	v_fma_f32 v3, -0.5, v24, v10
	v_sub_f32_e32 v16, v13, v19
	v_sub_f32_e32 v18, v15, v17
	;; [unrolled: 1-line block ×7, first 2 shown]
	v_add_f32_e32 v28, v13, v19
	v_sub_f32_e32 v13, v15, v13
	v_sub_f32_e32 v29, v17, v19
	v_fmac_f32_e32 v8, -0.5, v20
	v_add_f32_e32 v17, v5, v17
	v_mov_b32_e32 v5, v3
	v_add_f32_e32 v31, v11, v12
	v_add_f32_e32 v20, v21, v22
	;; [unrolled: 1-line block ×4, first 2 shown]
	v_mov_b32_e32 v11, v8
	v_fmac_f32_e32 v3, 0x3f737871, v9
	v_fmac_f32_e32 v5, 0xbf737871, v9
	v_add_f32_e32 v15, v26, v27
	v_mov_b32_e32 v4, v2
	v_fmac_f32_e32 v8, 0x3f737871, v18
	v_add_f32_e32 v13, v13, v14
	v_fmac_f32_e32 v11, 0xbf737871, v18
	v_add_f32_e32 v14, v17, v19
	v_fmac_f32_e32 v3, 0x3f167918, v25
	v_fmac_f32_e32 v5, 0xbf167918, v25
	v_add_u32_e32 v17, 0x187, v52
	v_fmac_f32_e32 v2, 0xbf737871, v16
	v_fmac_f32_e32 v4, 0x3f737871, v16
	;; [unrolled: 1-line block ×6, first 2 shown]
	v_mad_u64_u32 v[15:16], s[0:1], s12, v17, 0
	v_fmac_f32_e32 v10, -0.5, v28
	v_mov_b32_e32 v12, v10
	v_fmac_f32_e32 v10, 0xbf737871, v25
	v_fmac_f32_e32 v12, 0x3f737871, v25
	;; [unrolled: 1-line block ×5, first 2 shown]
	v_mov_b32_e32 v9, v16
	v_mad_u64_u32 v[16:17], s[0:1], s13, v17, v[9:10]
	v_add_u32_e32 v19, 0x264, v52
	v_fmac_f32_e32 v2, 0xbf167918, v18
	v_fmac_f32_e32 v4, 0x3f167918, v18
	v_mad_u64_u32 v[17:18], s[0:1], s12, v19, 0
	global_store_dwordx2 v[6:7], v[13:14], off
	v_lshlrev_b64 v[6:7], 3, v[15:16]
	v_mov_b32_e32 v9, v18
	v_add_co_u32_e32 v6, vcc, v0, v6
	v_fmac_f32_e32 v4, 0x3e9e377a, v31
	v_mad_u64_u32 v[13:14], s[0:1], s13, v19, v[9:10]
	v_addc_co_u32_e32 v7, vcc, v1, v7, vcc
	v_add_u32_e32 v9, 0x341, v52
	global_store_dwordx2 v[6:7], v[4:5], off
	v_mad_u64_u32 v[6:7], s[0:1], s12, v9, 0
	v_fmac_f32_e32 v8, 0x3e9e377a, v20
	v_mov_b32_e32 v18, v13
	v_mad_u64_u32 v[13:14], s[0:1], s13, v9, v[7:8]
	v_add_u32_e32 v9, 0x41e, v52
	v_lshlrev_b64 v[4:5], 3, v[17:18]
	v_mad_u64_u32 v[14:15], s[0:1], s12, v9, 0
	v_add_co_u32_e32 v4, vcc, v0, v4
	v_fmac_f32_e32 v11, 0x3e9e377a, v20
	v_fmac_f32_e32 v12, 0x3e9e377a, v21
	v_addc_co_u32_e32 v5, vcc, v1, v5, vcc
	v_mov_b32_e32 v7, v13
	global_store_dwordx2 v[4:5], v[11:12], off
	v_lshlrev_b64 v[4:5], 3, v[6:7]
	v_mov_b32_e32 v6, v15
	v_mad_u64_u32 v[6:7], s[0:1], s13, v9, v[6:7]
	v_add_co_u32_e32 v4, vcc, v0, v4
	v_addc_co_u32_e32 v5, vcc, v1, v5, vcc
	v_mov_b32_e32 v9, v10
	v_mov_b32_e32 v15, v6
	global_store_dwordx2 v[4:5], v[8:9], off
	v_lshlrev_b64 v[4:5], 3, v[14:15]
	v_fmac_f32_e32 v2, 0x3e9e377a, v31
	v_add_co_u32_e32 v0, vcc, v0, v4
	v_addc_co_u32_e32 v1, vcc, v1, v5, vcc
	global_store_dwordx2 v[0:1], v[2:3], off
.LBB0_21:
	s_endpgm
	.section	.rodata,"a",@progbits
	.p2align	6, 0x0
	.amdhsa_kernel fft_rtc_fwd_len1105_factors_17_13_5_wgs_255_tpt_85_halfLds_sp_ip_CI_sbrr_dirReg
		.amdhsa_group_segment_fixed_size 0
		.amdhsa_private_segment_fixed_size 0
		.amdhsa_kernarg_size 88
		.amdhsa_user_sgpr_count 6
		.amdhsa_user_sgpr_private_segment_buffer 1
		.amdhsa_user_sgpr_dispatch_ptr 0
		.amdhsa_user_sgpr_queue_ptr 0
		.amdhsa_user_sgpr_kernarg_segment_ptr 1
		.amdhsa_user_sgpr_dispatch_id 0
		.amdhsa_user_sgpr_flat_scratch_init 0
		.amdhsa_user_sgpr_private_segment_size 0
		.amdhsa_uses_dynamic_stack 0
		.amdhsa_system_sgpr_private_segment_wavefront_offset 0
		.amdhsa_system_sgpr_workgroup_id_x 1
		.amdhsa_system_sgpr_workgroup_id_y 0
		.amdhsa_system_sgpr_workgroup_id_z 0
		.amdhsa_system_sgpr_workgroup_info 0
		.amdhsa_system_vgpr_workitem_id 0
		.amdhsa_next_free_vgpr 95
		.amdhsa_next_free_sgpr 24
		.amdhsa_reserve_vcc 1
		.amdhsa_reserve_flat_scratch 0
		.amdhsa_float_round_mode_32 0
		.amdhsa_float_round_mode_16_64 0
		.amdhsa_float_denorm_mode_32 3
		.amdhsa_float_denorm_mode_16_64 3
		.amdhsa_dx10_clamp 1
		.amdhsa_ieee_mode 1
		.amdhsa_fp16_overflow 0
		.amdhsa_exception_fp_ieee_invalid_op 0
		.amdhsa_exception_fp_denorm_src 0
		.amdhsa_exception_fp_ieee_div_zero 0
		.amdhsa_exception_fp_ieee_overflow 0
		.amdhsa_exception_fp_ieee_underflow 0
		.amdhsa_exception_fp_ieee_inexact 0
		.amdhsa_exception_int_div_zero 0
	.end_amdhsa_kernel
	.text
.Lfunc_end0:
	.size	fft_rtc_fwd_len1105_factors_17_13_5_wgs_255_tpt_85_halfLds_sp_ip_CI_sbrr_dirReg, .Lfunc_end0-fft_rtc_fwd_len1105_factors_17_13_5_wgs_255_tpt_85_halfLds_sp_ip_CI_sbrr_dirReg
                                        ; -- End function
	.section	.AMDGPU.csdata,"",@progbits
; Kernel info:
; codeLenInByte = 13296
; NumSgprs: 28
; NumVgprs: 95
; ScratchSize: 0
; MemoryBound: 0
; FloatMode: 240
; IeeeMode: 1
; LDSByteSize: 0 bytes/workgroup (compile time only)
; SGPRBlocks: 3
; VGPRBlocks: 23
; NumSGPRsForWavesPerEU: 28
; NumVGPRsForWavesPerEU: 95
; Occupancy: 2
; WaveLimiterHint : 1
; COMPUTE_PGM_RSRC2:SCRATCH_EN: 0
; COMPUTE_PGM_RSRC2:USER_SGPR: 6
; COMPUTE_PGM_RSRC2:TRAP_HANDLER: 0
; COMPUTE_PGM_RSRC2:TGID_X_EN: 1
; COMPUTE_PGM_RSRC2:TGID_Y_EN: 0
; COMPUTE_PGM_RSRC2:TGID_Z_EN: 0
; COMPUTE_PGM_RSRC2:TIDIG_COMP_CNT: 0
	.type	__hip_cuid_3390298a825c4696,@object ; @__hip_cuid_3390298a825c4696
	.section	.bss,"aw",@nobits
	.globl	__hip_cuid_3390298a825c4696
__hip_cuid_3390298a825c4696:
	.byte	0                               ; 0x0
	.size	__hip_cuid_3390298a825c4696, 1

	.ident	"AMD clang version 19.0.0git (https://github.com/RadeonOpenCompute/llvm-project roc-6.4.0 25133 c7fe45cf4b819c5991fe208aaa96edf142730f1d)"
	.section	".note.GNU-stack","",@progbits
	.addrsig
	.addrsig_sym __hip_cuid_3390298a825c4696
	.amdgpu_metadata
---
amdhsa.kernels:
  - .args:
      - .actual_access:  read_only
        .address_space:  global
        .offset:         0
        .size:           8
        .value_kind:     global_buffer
      - .offset:         8
        .size:           8
        .value_kind:     by_value
      - .actual_access:  read_only
        .address_space:  global
        .offset:         16
        .size:           8
        .value_kind:     global_buffer
      - .actual_access:  read_only
        .address_space:  global
        .offset:         24
        .size:           8
        .value_kind:     global_buffer
      - .offset:         32
        .size:           8
        .value_kind:     by_value
      - .actual_access:  read_only
        .address_space:  global
        .offset:         40
        .size:           8
        .value_kind:     global_buffer
      - .actual_access:  read_only
        .address_space:  global
        .offset:         48
        .size:           8
        .value_kind:     global_buffer
      - .offset:         56
        .size:           4
        .value_kind:     by_value
      - .actual_access:  read_only
        .address_space:  global
        .offset:         64
        .size:           8
        .value_kind:     global_buffer
      - .actual_access:  read_only
        .address_space:  global
        .offset:         72
        .size:           8
        .value_kind:     global_buffer
      - .address_space:  global
        .offset:         80
        .size:           8
        .value_kind:     global_buffer
    .group_segment_fixed_size: 0
    .kernarg_segment_align: 8
    .kernarg_segment_size: 88
    .language:       OpenCL C
    .language_version:
      - 2
      - 0
    .max_flat_workgroup_size: 255
    .name:           fft_rtc_fwd_len1105_factors_17_13_5_wgs_255_tpt_85_halfLds_sp_ip_CI_sbrr_dirReg
    .private_segment_fixed_size: 0
    .sgpr_count:     28
    .sgpr_spill_count: 0
    .symbol:         fft_rtc_fwd_len1105_factors_17_13_5_wgs_255_tpt_85_halfLds_sp_ip_CI_sbrr_dirReg.kd
    .uniform_work_group_size: 1
    .uses_dynamic_stack: false
    .vgpr_count:     95
    .vgpr_spill_count: 0
    .wavefront_size: 64
amdhsa.target:   amdgcn-amd-amdhsa--gfx906
amdhsa.version:
  - 1
  - 2
...

	.end_amdgpu_metadata
